;; amdgpu-corpus repo=ROCm/rocFFT kind=compiled arch=gfx950 opt=O3
	.text
	.amdgcn_target "amdgcn-amd-amdhsa--gfx950"
	.amdhsa_code_object_version 6
	.protected	fft_rtc_back_len952_factors_17_4_2_7_wgs_204_tpt_68_halfLds_sp_op_CI_CI_unitstride_sbrr_R2C_dirReg ; -- Begin function fft_rtc_back_len952_factors_17_4_2_7_wgs_204_tpt_68_halfLds_sp_op_CI_CI_unitstride_sbrr_R2C_dirReg
	.globl	fft_rtc_back_len952_factors_17_4_2_7_wgs_204_tpt_68_halfLds_sp_op_CI_CI_unitstride_sbrr_R2C_dirReg
	.p2align	8
	.type	fft_rtc_back_len952_factors_17_4_2_7_wgs_204_tpt_68_halfLds_sp_op_CI_CI_unitstride_sbrr_R2C_dirReg,@function
fft_rtc_back_len952_factors_17_4_2_7_wgs_204_tpt_68_halfLds_sp_op_CI_CI_unitstride_sbrr_R2C_dirReg: ; @fft_rtc_back_len952_factors_17_4_2_7_wgs_204_tpt_68_halfLds_sp_op_CI_CI_unitstride_sbrr_R2C_dirReg
; %bb.0:
	s_load_dwordx4 s[4:7], s[0:1], 0x58
	s_load_dwordx4 s[8:11], s[0:1], 0x0
	;; [unrolled: 1-line block ×3, first 2 shown]
	v_mul_u32_u24_e32 v1, 0x3c4, v0
	v_lshrrev_b32_e32 v2, 16, v1
	v_mad_u64_u32 v[4:5], s[2:3], s2, 3, v[2:3]
	v_mov_b32_e32 v6, 0
	v_mov_b32_e32 v5, v6
	s_waitcnt lgkmcnt(0)
	v_cmp_lt_u64_e64 s[2:3], s[10:11], 2
	v_mov_b64_e32 v[2:3], 0
	s_and_b64 vcc, exec, s[2:3]
	v_mov_b64_e32 v[40:41], v[2:3]
	v_mov_b64_e32 v[42:43], v[4:5]
	s_cbranch_vccnz .LBB0_8
; %bb.1:
	s_load_dwordx2 s[2:3], s[0:1], 0x10
	s_add_u32 s16, s14, 8
	s_addc_u32 s17, s15, 0
	s_add_u32 s18, s12, 8
	s_addc_u32 s19, s13, 0
	s_waitcnt lgkmcnt(0)
	s_add_u32 s20, s2, 8
	v_mov_b64_e32 v[2:3], 0
	s_addc_u32 s21, s3, 0
	s_mov_b64 s[22:23], 1
	v_mov_b64_e32 v[40:41], v[2:3]
	v_mov_b64_e32 v[8:9], v[4:5]
.LBB0_2:                                ; =>This Inner Loop Header: Depth=1
	s_load_dwordx2 s[24:25], s[20:21], 0x0
                                        ; implicit-def: $vgpr42_vgpr43
	s_waitcnt lgkmcnt(0)
	v_or_b32_e32 v7, s25, v9
	v_cmp_ne_u64_e32 vcc, 0, v[6:7]
	s_and_saveexec_b64 s[2:3], vcc
	s_xor_b64 s[26:27], exec, s[2:3]
	s_cbranch_execz .LBB0_4
; %bb.3:                                ;   in Loop: Header=BB0_2 Depth=1
	v_cvt_f32_u32_e32 v1, s24
	v_cvt_f32_u32_e32 v5, s25
	s_sub_u32 s2, 0, s24
	s_subb_u32 s3, 0, s25
	v_fmac_f32_e32 v1, 0x4f800000, v5
	v_rcp_f32_e32 v1, v1
	s_nop 0
	v_mul_f32_e32 v1, 0x5f7ffffc, v1
	v_mul_f32_e32 v5, 0x2f800000, v1
	v_trunc_f32_e32 v5, v5
	v_fmac_f32_e32 v1, 0xcf800000, v5
	v_cvt_u32_f32_e32 v5, v5
	v_cvt_u32_f32_e32 v1, v1
	v_mul_lo_u32 v7, s2, v5
	v_mul_hi_u32 v10, s2, v1
	v_mul_lo_u32 v11, s3, v1
	v_add_u32_e32 v7, v10, v7
	v_mul_lo_u32 v14, s2, v1
	v_add_u32_e32 v7, v7, v11
	v_mul_hi_u32 v10, v1, v14
	v_mul_hi_u32 v13, v1, v7
	v_mul_lo_u32 v12, v1, v7
	v_mov_b32_e32 v11, v6
	v_lshl_add_u64 v[10:11], v[10:11], 0, v[12:13]
	v_mul_hi_u32 v13, v5, v14
	v_mul_lo_u32 v14, v5, v14
	v_add_co_u32_e32 v10, vcc, v10, v14
	v_mul_hi_u32 v12, v5, v7
	s_nop 0
	v_addc_co_u32_e32 v10, vcc, v11, v13, vcc
	v_mov_b32_e32 v11, v6
	s_nop 0
	v_addc_co_u32_e32 v13, vcc, 0, v12, vcc
	v_mul_lo_u32 v12, v5, v7
	v_lshl_add_u64 v[10:11], v[10:11], 0, v[12:13]
	v_add_co_u32_e32 v1, vcc, v1, v10
	v_mul_hi_u32 v10, s2, v1
	s_nop 0
	v_addc_co_u32_e32 v5, vcc, v5, v11, vcc
	v_mul_lo_u32 v7, s2, v5
	v_add_u32_e32 v7, v10, v7
	v_mul_lo_u32 v10, s3, v1
	v_add_u32_e32 v7, v7, v10
	v_mul_lo_u32 v12, s2, v1
	v_mul_hi_u32 v15, v5, v12
	v_mul_lo_u32 v16, v5, v12
	v_mul_hi_u32 v11, v1, v7
	;; [unrolled: 2-line block ×3, first 2 shown]
	v_mov_b32_e32 v13, v6
	v_lshl_add_u64 v[10:11], v[12:13], 0, v[10:11]
	v_add_co_u32_e32 v10, vcc, v10, v16
	v_mul_hi_u32 v14, v5, v7
	s_nop 0
	v_addc_co_u32_e32 v10, vcc, v11, v15, vcc
	v_mul_lo_u32 v12, v5, v7
	s_nop 0
	v_addc_co_u32_e32 v13, vcc, 0, v14, vcc
	v_mov_b32_e32 v11, v6
	v_lshl_add_u64 v[10:11], v[10:11], 0, v[12:13]
	v_add_co_u32_e32 v1, vcc, v1, v10
	v_mul_hi_u32 v12, v8, v1
	s_nop 0
	v_addc_co_u32_e32 v5, vcc, v5, v11, vcc
	v_mad_u64_u32 v[10:11], s[2:3], v8, v5, 0
	v_mov_b32_e32 v13, v6
	v_lshl_add_u64 v[10:11], v[12:13], 0, v[10:11]
	v_mad_u64_u32 v[14:15], s[2:3], v9, v1, 0
	v_add_co_u32_e32 v1, vcc, v10, v14
	v_mad_u64_u32 v[12:13], s[2:3], v9, v5, 0
	s_nop 0
	v_addc_co_u32_e32 v10, vcc, v11, v15, vcc
	v_mov_b32_e32 v11, v6
	s_nop 0
	v_addc_co_u32_e32 v13, vcc, 0, v13, vcc
	v_lshl_add_u64 v[10:11], v[10:11], 0, v[12:13]
	v_mul_lo_u32 v1, s25, v10
	v_mul_lo_u32 v5, s24, v11
	v_mad_u64_u32 v[12:13], s[2:3], s24, v10, 0
	v_add3_u32 v1, v13, v5, v1
	v_sub_u32_e32 v5, v9, v1
	v_mov_b32_e32 v7, s25
	v_sub_co_u32_e32 v16, vcc, v8, v12
	v_lshl_add_u64 v[14:15], v[10:11], 0, 1
	s_nop 0
	v_subb_co_u32_e64 v5, s[2:3], v5, v7, vcc
	v_subrev_co_u32_e64 v7, s[2:3], s24, v16
	v_subb_co_u32_e32 v1, vcc, v9, v1, vcc
	s_nop 0
	v_subbrev_co_u32_e64 v5, s[2:3], 0, v5, s[2:3]
	v_cmp_le_u32_e64 s[2:3], s25, v5
	v_cmp_le_u32_e32 vcc, s25, v1
	s_nop 0
	v_cndmask_b32_e64 v12, 0, -1, s[2:3]
	v_cmp_le_u32_e64 s[2:3], s24, v7
	s_nop 1
	v_cndmask_b32_e64 v7, 0, -1, s[2:3]
	v_cmp_eq_u32_e64 s[2:3], s25, v5
	s_nop 1
	v_cndmask_b32_e64 v5, v12, v7, s[2:3]
	v_lshl_add_u64 v[12:13], v[10:11], 0, 2
	v_cmp_ne_u32_e64 s[2:3], 0, v5
	v_cndmask_b32_e64 v7, 0, -1, vcc
	v_cmp_le_u32_e32 vcc, s24, v16
	v_cndmask_b32_e64 v5, v15, v13, s[2:3]
	s_nop 0
	v_cndmask_b32_e64 v13, 0, -1, vcc
	v_cmp_eq_u32_e32 vcc, s25, v1
	s_nop 1
	v_cndmask_b32_e32 v1, v7, v13, vcc
	v_cmp_ne_u32_e32 vcc, 0, v1
	v_cndmask_b32_e64 v1, v14, v12, s[2:3]
	s_nop 0
	v_cndmask_b32_e32 v43, v11, v5, vcc
	v_cndmask_b32_e32 v42, v10, v1, vcc
.LBB0_4:                                ;   in Loop: Header=BB0_2 Depth=1
	s_andn2_saveexec_b64 s[2:3], s[26:27]
	s_cbranch_execz .LBB0_6
; %bb.5:                                ;   in Loop: Header=BB0_2 Depth=1
	v_cvt_f32_u32_e32 v1, s24
	s_sub_i32 s26, 0, s24
	v_mov_b32_e32 v43, v6
	v_rcp_iflag_f32_e32 v1, v1
	s_nop 0
	v_mul_f32_e32 v1, 0x4f7ffffe, v1
	v_cvt_u32_f32_e32 v1, v1
	v_mul_lo_u32 v5, s26, v1
	v_mul_hi_u32 v5, v1, v5
	v_add_u32_e32 v1, v1, v5
	v_mul_hi_u32 v1, v8, v1
	v_mul_lo_u32 v5, v1, s24
	v_sub_u32_e32 v5, v8, v5
	v_add_u32_e32 v7, 1, v1
	v_subrev_u32_e32 v10, s24, v5
	v_cmp_le_u32_e32 vcc, s24, v5
	s_nop 1
	v_cndmask_b32_e32 v5, v5, v10, vcc
	v_cndmask_b32_e32 v1, v1, v7, vcc
	v_add_u32_e32 v7, 1, v1
	v_cmp_le_u32_e32 vcc, s24, v5
	s_nop 1
	v_cndmask_b32_e32 v42, v1, v7, vcc
.LBB0_6:                                ;   in Loop: Header=BB0_2 Depth=1
	s_or_b64 exec, exec, s[2:3]
	v_mad_u64_u32 v[10:11], s[2:3], v42, s24, 0
	s_load_dwordx2 s[2:3], s[18:19], 0x0
	s_add_u32 s22, s22, 1
	v_mul_lo_u32 v1, v43, s24
	v_mul_lo_u32 v5, v42, s25
	s_load_dwordx2 s[24:25], s[16:17], 0x0
	s_addc_u32 s23, s23, 0
	v_add3_u32 v1, v11, v5, v1
	v_sub_co_u32_e32 v5, vcc, v8, v10
	s_add_u32 s16, s16, 8
	s_nop 0
	v_subb_co_u32_e32 v1, vcc, v9, v1, vcc
	s_addc_u32 s17, s17, 0
	s_waitcnt lgkmcnt(0)
	v_mul_lo_u32 v7, s2, v1
	v_mul_lo_u32 v8, s3, v5
	v_mad_u64_u32 v[2:3], s[2:3], s2, v5, v[2:3]
	s_add_u32 s18, s18, 8
	v_add3_u32 v3, v8, v3, v7
	s_addc_u32 s19, s19, 0
	v_mov_b64_e32 v[8:9], s[10:11]
	v_mul_lo_u32 v1, s24, v1
	v_mul_lo_u32 v7, s25, v5
	v_mad_u64_u32 v[40:41], s[2:3], s24, v5, v[40:41]
	s_add_u32 s20, s20, 8
	v_cmp_ge_u64_e32 vcc, s[22:23], v[8:9]
	v_add3_u32 v41, v7, v41, v1
	s_addc_u32 s21, s21, 0
	s_cbranch_vccnz .LBB0_8
; %bb.7:                                ;   in Loop: Header=BB0_2 Depth=1
	v_mov_b64_e32 v[8:9], v[42:43]
	s_branch .LBB0_2
.LBB0_8:
	s_load_dwordx2 s[18:19], s[0:1], 0x28
	s_mov_b32 s0, 0xaaaaaaab
	v_mul_hi_u32 v1, v4, s0
	s_lshl_b64 s[16:17], s[10:11], 3
	v_lshrrev_b32_e32 v1, 1, v1
	s_add_u32 s2, s14, s16
	v_lshl_add_u32 v1, v1, 1, v1
	s_addc_u32 s3, s15, s17
	v_sub_u32_e32 v1, v4, v1
	s_waitcnt lgkmcnt(0)
	v_cmp_gt_u64_e64 s[0:1], s[18:19], v[42:43]
	v_cmp_le_u64_e32 vcc, s[18:19], v[42:43]
                                        ; implicit-def: $vgpr44
	s_and_saveexec_b64 s[10:11], vcc
	s_xor_b64 s[10:11], exec, s[10:11]
; %bb.9:
	s_mov_b32 s14, 0x3c3c3c4
	v_mul_hi_u32 v2, v0, s14
	v_mul_u32_u24_e32 v2, 0x44, v2
	v_sub_u32_e32 v44, v0, v2
                                        ; implicit-def: $vgpr0
                                        ; implicit-def: $vgpr2_vgpr3
; %bb.10:
	s_or_saveexec_b64 s[10:11], s[10:11]
	v_mul_u32_u24_e32 v1, 0x3b9, v1
	v_lshlrev_b32_e32 v228, 3, v1
	s_xor_b64 exec, exec, s[10:11]
	s_cbranch_execz .LBB0_12
; %bb.11:
	s_add_u32 s12, s12, s16
	s_addc_u32 s13, s13, s17
	s_load_dwordx2 s[12:13], s[12:13], 0x0
	s_mov_b32 s14, 0x3c3c3c4
	s_waitcnt lgkmcnt(0)
	v_mul_lo_u32 v1, s13, v42
	v_mul_lo_u32 v6, s12, v43
	v_mad_u64_u32 v[4:5], s[12:13], s12, v42, 0
	v_add3_u32 v5, v5, v6, v1
	v_mul_hi_u32 v1, v0, s14
	v_mul_u32_u24_e32 v1, 0x44, v1
	v_sub_u32_e32 v44, v0, v1
	v_lshl_add_u64 v[0:1], v[4:5], 3, s[4:5]
	v_lshl_add_u64 v[0:1], v[2:3], 3, v[0:1]
	v_lshlrev_b32_e32 v2, 3, v44
	v_mov_b32_e32 v3, 0
	v_lshl_add_u64 v[0:1], v[0:1], 0, v[2:3]
	s_movk_i32 s4, 0x1000
	global_load_dwordx2 v[4:5], v[0:1], off
	global_load_dwordx2 v[6:7], v[0:1], off offset:544
	global_load_dwordx2 v[8:9], v[0:1], off offset:1088
	;; [unrolled: 1-line block ×7, first 2 shown]
	v_add_co_u32_e32 v0, vcc, s4, v0
	s_nop 1
	v_addc_co_u32_e32 v1, vcc, 0, v1, vcc
	global_load_dwordx2 v[20:21], v[0:1], off offset:256
	global_load_dwordx2 v[22:23], v[0:1], off offset:800
	;; [unrolled: 1-line block ×6, first 2 shown]
	v_add3_u32 v0, 0, v228, v2
	v_add_u32_e32 v1, 0x800, v0
	v_add_u32_e32 v2, 0x1000, v0
	;; [unrolled: 1-line block ×3, first 2 shown]
	s_waitcnt vmcnt(12)
	ds_write2_b64 v0, v[4:5], v[6:7] offset1:68
	s_waitcnt vmcnt(10)
	ds_write2_b64 v0, v[8:9], v[10:11] offset0:136 offset1:204
	s_waitcnt vmcnt(8)
	ds_write2_b64 v1, v[12:13], v[14:15] offset0:16 offset1:84
	;; [unrolled: 2-line block ×6, first 2 shown]
.LBB0_12:
	s_or_b64 exec, exec, s[10:11]
	v_lshlrev_b32_e32 v226, 3, v44
	v_add_u32_e32 v0, 0, v226
	v_add_u32_e32 v227, v0, v228
	;; [unrolled: 1-line block ×3, first 2 shown]
	s_waitcnt lgkmcnt(0)
	s_barrier
	ds_read2_b64 v[16:19], v227 offset0:56 offset1:112
	ds_read2_b64 v[8:11], v0 offset0:72 offset1:128
	v_add_u32_e32 v45, 0x1400, v227
	v_add_u32_e32 v88, 0, v228
	ds_read2_b64 v[12:15], v45 offset0:88 offset1:144
	ds_read2_b64 v[20:23], v227 offset0:168 offset1:224
	v_add_u32_e32 v225, v88, v226
	s_mov_b32 s4, 0x3f3d2fb0
	s_waitcnt lgkmcnt(2)
	v_pk_add_f32 v[52:53], v[10:11], v[16:17]
	v_pk_add_f32 v[54:55], v[16:17], v[10:11] neg_lo:[0,1] neg_hi:[0,1]
	s_mov_b32 s5, 0xbf2c7751
	ds_read_b64 v[46:47], v225
	s_mov_b32 s10, 0x3dbcf732
	v_add_u32_e32 v229, 0x1000, v227
	v_pk_add_f32 v[50:51], v[8:9], v[18:19]
	v_pk_add_f32 v[56:57], v[18:19], v[8:9] neg_lo:[0,1] neg_hi:[0,1]
	v_mov_b32_e32 v4, v55
	v_mov_b32_e32 v5, v53
	s_mov_b32 s11, 0xbf7ee86f
	s_mov_b32 s12, s5
	;; [unrolled: 1-line block ×3, first 2 shown]
	v_add_u32_e32 v224, 0x800, v227
	ds_read2_b64 v[24:27], v229 offset0:104 offset1:160
	ds_read2_b64 v[28:31], v224 offset0:24 offset1:80
	s_mov_b32 s22, s11
	s_mov_b32 s23, s10
	v_mov_b32_e32 v76, v52
	v_mov_b32_e32 v77, v54
	;; [unrolled: 1-line block ×4, first 2 shown]
	v_pk_mul_f32 v[90:91], v[4:5], s[12:13]
	s_mov_b32 s12, 0xbf1a4643
	s_waitcnt lgkmcnt(3)
	v_pk_add_f32 v[48:49], v[14:15], v[20:21]
	v_pk_add_f32 v[58:59], v[20:21], v[14:15] neg_lo:[0,1] neg_hi:[0,1]
	v_mov_b32_e32 v78, v50
	v_mov_b32_e32 v79, v56
	v_pk_fma_f32 v[82:83], v[76:77], s[4:5], v[90:91]
	v_pk_fma_f32 v[0:1], v[76:77], s[4:5], v[90:91] neg_lo:[0,0,1] neg_hi:[0,0,1]
	v_pk_mul_f32 v[236:237], v[6:7], s[22:23]
	s_mov_b32 s13, 0xbf4c4adb
	v_mov_b32_e32 v154, v59
	v_mov_b32_e32 v155, v49
	;; [unrolled: 1-line block ×3, first 2 shown]
	v_pk_fma_f32 v[86:87], v[78:79], s[10:11], v[236:237]
	v_pk_fma_f32 v[2:3], v[78:79], s[10:11], v[236:237] neg_lo:[0,0,1] neg_hi:[0,0,1]
	s_mov_b32 s36, s13
	s_mov_b32 s37, s12
	;; [unrolled: 1-line block ×3, first 2 shown]
	v_mov_b32_e32 v3, v87
	s_waitcnt lgkmcnt(2)
	v_pk_add_f32 v[0:1], v[46:47], v[0:1]
	v_mov_b32_e32 v100, v48
	v_mov_b32_e32 v101, v58
	v_pk_mul_f32 v[94:95], v[154:155], s[36:37]
	s_mov_b32 s15, 0xbe3c28d5
	v_pk_add_f32 v[60:61], v[12:13], v[22:23]
	v_pk_add_f32 v[64:65], v[22:23], v[12:13] neg_lo:[0,1] neg_hi:[0,1]
	v_pk_add_f32 v[0:1], v[2:3], v[0:1]
	v_pk_fma_f32 v[92:93], v[100:101], s[12:13], v[94:95]
	v_pk_fma_f32 v[2:3], v[100:101], s[12:13], v[94:95] neg_lo:[0,0,1] neg_hi:[0,0,1]
	s_mov_b32 s38, s15
	s_mov_b32 s39, s14
	v_mov_b32_e32 v168, v65
	v_mov_b32_e32 v169, v61
	s_mov_b32 s18, 0xbf59a7d5
	s_mov_b32 s16, 0x3f06c442
	s_waitcnt lgkmcnt(0)
	v_pk_add_f32 v[62:63], v[26:27], v[28:29]
	v_pk_add_f32 v[68:69], v[28:29], v[26:27] neg_lo:[0,1] neg_hi:[0,1]
	v_mov_b32_e32 v3, v93
	v_mov_b32_e32 v106, v60
	;; [unrolled: 1-line block ×3, first 2 shown]
	v_pk_mul_f32 v[98:99], v[168:169], s[38:39]
	s_mov_b32 s19, 0xbf06c442
	v_mov_b32_e32 v194, v69
	v_mov_b32_e32 v195, v63
	v_pk_mul_f32 v[152:153], v[56:57], s[16:17] op_sel_hi:[1,0]
	s_mov_b32 s17, s18
	v_pk_add_f32 v[0:1], v[2:3], v[0:1]
	v_pk_fma_f32 v[96:97], v[106:107], s[14:15], v[98:99]
	v_pk_fma_f32 v[2:3], v[106:107], s[14:15], v[98:99] neg_lo:[0,0,1] neg_hi:[0,0,1]
	s_mov_b32 s41, s16
	v_pk_mul_f32 v[104:105], v[194:195], s[16:17]
	s_mov_b32 s16, 0xbe8c1d8e
	v_mov_b32_e32 v3, v97
	v_mov_b32_e32 v112, v62
	;; [unrolled: 1-line block ×3, first 2 shown]
	s_mov_b32 s40, s18
	s_mov_b32 s17, 0x3f763a35
	v_pk_add_f32 v[66:67], v[24:25], v[30:31]
	v_pk_add_f32 v[72:73], v[30:31], v[24:25] neg_lo:[0,1] neg_hi:[0,1]
	v_pk_add_f32 v[0:1], v[2:3], v[0:1]
	v_pk_fma_f32 v[102:103], v[112:113], s[40:41], v[104:105]
	v_pk_fma_f32 v[2:3], v[112:113], s[40:41], v[104:105] neg_lo:[0,0,1] neg_hi:[0,0,1]
	s_mov_b32 s34, s17
	s_mov_b32 s35, s16
	v_mov_b32_e32 v198, v73
	v_mov_b32_e32 v199, v67
	;; [unrolled: 1-line block ×5, first 2 shown]
	v_pk_mul_f32 v[110:111], v[198:199], s[34:35]
	v_pk_add_f32 v[0:1], v[2:3], v[0:1]
	v_pk_fma_f32 v[2:3], v[126:127], s[16:17], v[110:111] neg_lo:[0,0,1] neg_hi:[0,0,1]
	s_mov_b32 s20, 0x3ee437d1
	v_add_u32_e32 v3, 0xc00, v227
	ds_read2_b64 v[32:35], v3 offset0:120 offset1:176
	ds_read2_b64 v[36:39], v224 offset0:136 offset1:192
	s_mov_b32 s27, 0x3f65296c
	v_pk_fma_f32 v[108:109], v[126:127], s[16:17], v[110:111]
	s_mov_b32 s21, 0xbf65296c
	s_mov_b32 s24, s27
	s_waitcnt lgkmcnt(0)
	v_pk_add_f32 v[70:71], v[34:35], v[36:37]
	v_pk_add_f32 v[74:75], v[36:37], v[34:35] neg_lo:[0,1] neg_hi:[0,1]
	v_mov_b32_e32 v203, v71
	v_mov_b32_e32 v202, v75
	s_mov_b32 s25, s20
	v_mov_b32_e32 v3, v109
	v_mov_b32_e32 v128, v70
	v_mov_b32_e32 v129, v74
	s_mov_b32 s26, s20
	v_pk_mul_f32 v[124:125], v[202:203], s[24:25]
	v_pk_add_f32 v[0:1], v[2:3], v[0:1]
	v_pk_fma_f32 v[122:123], v[128:129], s[26:27], v[124:125]
	v_pk_fma_f32 v[2:3], v[128:129], s[26:27], v[124:125] neg_lo:[0,0,1] neg_hi:[0,0,1]
	s_mov_b32 s42, s21
	s_mov_b32 s43, s20
	v_mov_b32_e32 v3, v123
	v_pk_mul_f32 v[118:119], v[4:5], s[42:43]
	v_pk_add_f32 v[0:1], v[2:3], v[0:1]
	v_pk_fma_f32 v[114:115], v[76:77], s[20:21], v[118:119]
	v_pk_fma_f32 v[2:3], v[76:77], s[20:21], v[118:119] neg_lo:[0,0,1] neg_hi:[0,0,1]
	v_pk_mul_f32 v[120:121], v[6:7], s[36:37]
	v_mov_b32_e32 v3, v115
	v_pk_fma_f32 v[116:117], v[78:79], s[12:13], v[120:121]
	v_pk_fma_f32 v[80:81], v[78:79], s[12:13], v[120:121] neg_lo:[0,0,1] neg_hi:[0,0,1]
	s_mov_b32 s24, 0x3e3c28d5
	s_mov_b32 s25, s14
	v_mov_b32_e32 v81, v117
	v_pk_add_f32 v[2:3], v[46:47], v[2:3]
	s_mov_b32 s44, s14
	s_mov_b32 s45, s24
	v_pk_mul_f32 v[134:135], v[154:155], s[24:25]
	v_pk_add_f32 v[2:3], v[80:81], v[2:3]
	v_pk_fma_f32 v[130:131], v[100:101], s[44:45], v[134:135]
	v_pk_fma_f32 v[80:81], v[100:101], s[44:45], v[134:135] neg_lo:[0,0,1] neg_hi:[0,0,1]
	v_pk_mul_f32 v[136:137], v[168:169], s[34:35]
	v_mov_b32_e32 v81, v131
	s_mov_b32 s29, 0x3f2c7751
	v_pk_add_f32 v[2:3], v[80:81], v[2:3]
	v_pk_fma_f32 v[132:133], v[106:107], s[16:17], v[136:137]
	v_pk_fma_f32 v[80:81], v[106:107], s[16:17], v[136:137] neg_lo:[0,0,1] neg_hi:[0,0,1]
	s_mov_b32 s48, s29
	s_mov_b32 s49, s4
	v_mov_b32_e32 v81, v133
	s_mov_b32 s28, s4
	v_pk_mul_f32 v[140:141], v[194:195], s[48:49]
	s_mov_b32 s24, 0x3f6eb680
	s_mov_b32 s47, 0xbeb8f4ab
	v_pk_add_f32 v[2:3], v[80:81], v[2:3]
	v_pk_fma_f32 v[138:139], v[112:113], s[28:29], v[140:141]
	v_pk_fma_f32 v[80:81], v[112:113], s[28:29], v[140:141] neg_lo:[0,0,1] neg_hi:[0,0,1]
	s_mov_b32 s25, 0x3eb8f4ab
	s_mov_b32 s50, s47
	;; [unrolled: 1-line block ×3, first 2 shown]
	v_mov_b32_e32 v81, v139
	s_mov_b32 s46, s24
	v_pk_mul_f32 v[146:147], v[198:199], s[50:51]
	v_pk_add_f32 v[2:3], v[80:81], v[2:3]
	v_pk_fma_f32 v[142:143], v[126:127], s[46:47], v[146:147]
	v_pk_fma_f32 v[80:81], v[126:127], s[46:47], v[146:147] neg_lo:[0,0,1] neg_hi:[0,0,1]
	v_pk_mul_f32 v[148:149], v[202:203], s[22:23]
	v_mov_b32_e32 v81, v143
	v_pk_add_f32 v[2:3], v[80:81], v[2:3]
	v_pk_fma_f32 v[144:145], v[128:129], s[10:11], v[148:149]
	v_pk_fma_f32 v[80:81], v[128:129], s[10:11], v[148:149] neg_lo:[0,0,1] neg_hi:[0,0,1]
	v_pk_add_f32 v[84:85], v[38:39], v[32:33] neg_lo:[0,1] neg_hi:[0,1]
	v_mov_b32_e32 v81, v145
	v_pk_add_f32 v[150:151], v[80:81], v[2:3]
	v_pk_add_f32 v[80:81], v[32:33], v[38:39]
	s_mov_b32 s52, s25
	s_mov_b32 s53, s24
	;; [unrolled: 1-line block ×4, first 2 shown]
	v_mov_b32_e32 v206, v85
	v_mov_b32_e32 v207, v81
	;; [unrolled: 1-line block ×4, first 2 shown]
	v_pk_mul_f32 v[190:191], v[206:207], s[52:53]
	v_pk_mul_f32 v[158:159], v[206:207], s[54:55]
	v_pk_fma_f32 v[188:189], v[210:211], s[24:25], v[190:191]
	v_pk_fma_f32 v[2:3], v[210:211], s[24:25], v[190:191] neg_lo:[0,0,1] neg_hi:[0,0,1]
	v_pk_fma_f32 v[156:157], v[210:211], s[18:19], v[158:159]
	v_pk_fma_f32 v[160:161], v[210:211], s[18:19], v[158:159] neg_lo:[0,0,1] neg_hi:[0,0,1]
	v_mov_b32_e32 v3, v189
	v_mov_b32_e32 v161, v157
	v_pk_mul_f32 v[164:165], v[4:5], s[22:23]
	v_pk_add_f32 v[2:3], v[2:3], v[0:1]
	v_pk_add_f32 v[0:1], v[160:161], v[150:151]
	v_pk_fma_f32 v[160:161], v[76:77], s[10:11], v[164:165]
	v_pk_fma_f32 v[4:5], v[76:77], s[10:11], v[164:165] neg_lo:[0,0,1] neg_hi:[0,0,1]
	v_pk_mul_f32 v[166:167], v[6:7], s[38:39]
	v_mov_b32_e32 v5, v161
	v_pk_fma_f32 v[162:163], v[78:79], s[14:15], v[166:167]
	v_pk_fma_f32 v[6:7], v[78:79], s[14:15], v[166:167] neg_lo:[0,0,1] neg_hi:[0,0,1]
	v_pk_add_f32 v[4:5], v[46:47], v[4:5]
	v_mov_b32_e32 v7, v163
	s_mov_b32 s30, 0xbf763a35
	v_pk_add_f32 v[4:5], v[6:7], v[4:5]
	v_pk_mul_f32 v[6:7], v[54:55], s[30:31] op_sel_hi:[1,0]
	v_pk_fma_f32 v[218:219], v[50:51], s[18:19], v[152:153] op_sel:[0,0,1] op_sel_hi:[1,0,0] neg_lo:[0,0,1] neg_hi:[0,0,1]
	v_pk_fma_f32 v[216:217], v[52:53], s[16:17], v[6:7] op_sel:[0,0,1] op_sel_hi:[1,0,0] neg_lo:[0,0,1] neg_hi:[0,0,1]
	v_pk_fma_f32 v[150:151], v[52:53], s[16:17], v[6:7] op_sel:[0,0,1] op_sel_hi:[1,0,0]
	v_mov_b32_e32 v6, v216
	v_mov_b32_e32 v7, v151
	v_pk_fma_f32 v[152:153], v[50:51], s[18:19], v[152:153] op_sel:[0,0,1] op_sel_hi:[1,0,0]
	v_mov_b32_e32 v170, v218
	v_mov_b32_e32 v171, v153
	v_pk_add_f32 v[6:7], v[46:47], v[6:7]
	v_pk_mul_f32 v[174:175], v[168:169], s[52:53]
	v_pk_add_f32 v[6:7], v[170:171], v[6:7]
	v_pk_mul_f32 v[170:171], v[154:155], s[34:35]
	v_pk_fma_f32 v[168:169], v[106:107], s[24:25], v[174:175]
	v_pk_fma_f32 v[154:155], v[100:101], s[16:17], v[170:171]
	v_pk_fma_f32 v[172:173], v[100:101], s[16:17], v[170:171] neg_lo:[0,0,1] neg_hi:[0,0,1]
	v_pk_mul_f32 v[178:179], v[194:195], s[42:43]
	v_mov_b32_e32 v173, v155
	v_pk_add_f32 v[4:5], v[172:173], v[4:5]
	v_pk_fma_f32 v[172:173], v[106:107], s[24:25], v[174:175] neg_lo:[0,0,1] neg_hi:[0,0,1]
	v_pk_fma_f32 v[176:177], v[112:113], s[20:21], v[178:179] neg_lo:[0,0,1] neg_hi:[0,0,1]
	v_mov_b32_e32 v173, v169
	v_pk_add_f32 v[4:5], v[172:173], v[4:5]
	v_pk_fma_f32 v[172:173], v[112:113], s[20:21], v[178:179]
	v_pk_mul_f32 v[180:181], v[198:199], s[54:55]
	v_mov_b32_e32 v177, v173
	s_mov_b32 s35, 0x3f4c4adb
	v_pk_add_f32 v[4:5], v[176:177], v[4:5]
	v_pk_fma_f32 v[176:177], v[126:127], s[18:19], v[180:181]
	v_pk_fma_f32 v[182:183], v[126:127], s[18:19], v[180:181] neg_lo:[0,0,1] neg_hi:[0,0,1]
	s_mov_b32 s22, s35
	s_mov_b32 s23, s12
	v_mov_b32_e32 v183, v177
	s_mov_b32 s34, s12
	v_pk_mul_f32 v[186:187], v[202:203], s[22:23]
	v_pk_add_f32 v[4:5], v[182:183], v[4:5]
	v_pk_fma_f32 v[184:185], v[128:129], s[34:35], v[186:187]
	v_pk_fma_f32 v[182:183], v[128:129], s[34:35], v[186:187] neg_lo:[0,0,1] neg_hi:[0,0,1]
	s_mov_b32 s22, s29
	v_mov_b32_e32 v183, v185
	v_pk_add_f32 v[4:5], v[182:183], v[4:5]
	v_pk_mul_f32 v[182:183], v[58:59], s[22:23] op_sel_hi:[1,0]
	s_mov_b32 s22, s21
	v_pk_fma_f32 v[220:221], v[48:49], s[4:5], v[182:183] op_sel:[0,0,1] op_sel_hi:[1,0,0] neg_lo:[0,0,1] neg_hi:[0,0,1]
	v_pk_fma_f32 v[182:183], v[48:49], s[4:5], v[182:183] op_sel:[0,0,1] op_sel_hi:[1,0,0]
	v_mov_b32_e32 v192, v220
	v_mov_b32_e32 v193, v183
	v_pk_add_f32 v[6:7], v[192:193], v[6:7]
	v_pk_mul_f32 v[192:193], v[64:65], s[22:23] op_sel_hi:[1,0]
	s_mov_b32 s23, s10
	v_pk_fma_f32 v[222:223], v[60:61], s[20:21], v[192:193] op_sel:[0,0,1] op_sel_hi:[1,0,0] neg_lo:[0,0,1] neg_hi:[0,0,1]
	v_pk_fma_f32 v[192:193], v[60:61], s[20:21], v[192:193] op_sel:[0,0,1] op_sel_hi:[1,0,0]
	v_mov_b32_e32 v196, v222
	v_mov_b32_e32 v197, v193
	v_pk_add_f32 v[6:7], v[196:197], v[6:7]
	v_pk_mul_f32 v[196:197], v[194:195], s[38:39]
	s_mov_b32 s39, 0x3f7ee86f
	v_pk_fma_f32 v[200:201], v[112:113], s[14:15], v[196:197] neg_lo:[0,0,1] neg_hi:[0,0,1]
	v_pk_fma_f32 v[194:195], v[112:113], s[14:15], v[196:197]
	s_mov_b32 s22, s39
	v_mov_b32_e32 v201, v195
	v_pk_mul_f32 v[198:199], v[198:199], s[22:23]
	s_mov_b32 s38, s10
	v_pk_add_f32 v[6:7], v[200:201], v[6:7]
	v_pk_fma_f32 v[204:205], v[126:127], s[38:39], v[198:199] neg_lo:[0,0,1] neg_hi:[0,0,1]
	v_pk_fma_f32 v[200:201], v[126:127], s[38:39], v[198:199]
	v_pk_mul_f32 v[214:215], v[206:207], s[48:49]
	v_mov_b32_e32 v205, v201
	v_pk_add_f32 v[6:7], v[204:205], v[6:7]
	v_pk_mul_f32 v[204:205], v[202:203], s[50:51]
	v_pk_fma_f32 v[212:213], v[210:211], s[28:29], v[214:215]
	v_pk_fma_f32 v[208:209], v[128:129], s[46:47], v[204:205] neg_lo:[0,0,1] neg_hi:[0,0,1]
	v_pk_fma_f32 v[202:203], v[128:129], s[46:47], v[204:205]
	v_cmp_gt_u32_e32 vcc, 56, v44
	v_mov_b32_e32 v209, v203
	v_pk_add_f32 v[232:233], v[208:209], v[6:7]
	v_pk_fma_f32 v[6:7], v[210:211], s[28:29], v[214:215] neg_lo:[0,0,1] neg_hi:[0,0,1]
	v_pk_mul_f32 v[208:209], v[206:207], s[36:37]
	v_mov_b32_e32 v7, v213
	v_pk_add_f32 v[6:7], v[6:7], v[4:5]
	v_pk_fma_f32 v[4:5], v[210:211], s[12:13], v[208:209] neg_lo:[0,0,1] neg_hi:[0,0,1]
	v_pk_fma_f32 v[206:207], v[210:211], s[12:13], v[208:209]
	s_nop 0
	v_mov_b32_e32 v5, v207
	v_pk_add_f32 v[4:5], v[4:5], v[232:233]
	s_barrier
	s_and_saveexec_b64 s[22:23], vcc
	s_cbranch_execz .LBB0_14
; %bb.13:
	v_pk_add_f32 v[16:17], v[46:47], v[16:17]
	v_pk_mul_f32 v[230:231], v[100:101], s[16:17]
	v_pk_add_f32 v[16:17], v[16:17], v[18:19]
	v_accvgpr_write_b32 a8, v230
	v_pk_add_f32 v[16:17], v[16:17], v[20:21]
	v_accvgpr_write_b32 a9, v231
	v_pk_add_f32 v[16:17], v[16:17], v[22:23]
	v_pk_mul_f32 v[230:231], v[106:107], s[24:25]
	v_pk_add_f32 v[16:17], v[16:17], v[28:29]
	v_accvgpr_write_b32 a6, v230
	v_pk_add_f32 v[16:17], v[16:17], v[30:31]
	v_accvgpr_write_b32 a7, v231
	;; [unrolled: 6-line block ×3, first 2 shown]
	v_pk_add_f32 v[16:17], v[16:17], v[34:35]
	v_pk_mul_f32 v[230:231], v[126:127], s[18:19]
	v_pk_add_f32 v[16:17], v[16:17], v[24:25]
	v_accvgpr_write_b32 a2, v230
	v_pk_add_f32 v[16:17], v[16:17], v[26:27]
	s_mov_b32 s48, s47
	v_pk_add_f32 v[12:13], v[16:17], v[12:13]
	v_accvgpr_write_b32 a3, v231
	v_pk_add_f32 v[12:13], v[12:13], v[14:15]
	v_pk_mul_f32 v[230:231], v[54:55], s[48:49] op_sel_hi:[1,0]
	v_pk_add_f32 v[8:9], v[12:13], v[8:9]
	s_mov_b32 s52, s5
	v_pk_add_f32 v[8:9], v[8:9], v[10:11]
	v_pk_fma_f32 v[12:13], v[52:53], s[24:25], v[230:231] op_sel:[0,0,1] op_sel_hi:[1,0,0]
	v_pk_fma_f32 v[10:11], v[52:53], s[24:25], v[230:231] op_sel:[0,0,1] op_sel_hi:[1,0,0] neg_lo:[0,0,1] neg_hi:[0,0,1]
	v_mov_b32_e32 v83, v88
	v_pk_mul_f32 v[88:89], v[56:57], s[52:53] op_sel_hi:[1,0]
	v_accvgpr_write_b32 a1, v13
	v_mov_b32_e32 v13, v11
	s_mov_b32 s36, s21
	v_pk_add_f32 v[16:17], v[46:47], v[12:13]
	v_pk_fma_f32 v[12:13], v[50:51], s[4:5], v[88:89] op_sel:[0,0,1] op_sel_hi:[1,0,0]
	v_pk_fma_f32 v[14:15], v[50:51], s[4:5], v[88:89] op_sel:[0,0,1] op_sel_hi:[1,0,0] neg_lo:[0,0,1] neg_hi:[0,0,1]
	v_pk_mul_f32 v[18:19], v[58:59], s[36:37] op_sel_hi:[1,0]
	v_mov_b32_e32 v22, v12
	v_mov_b32_e32 v23, v15
	s_mov_b32 s50, s11
	v_pk_add_f32 v[22:23], v[22:23], v[16:17]
	v_pk_fma_f32 v[16:17], v[48:49], s[20:21], v[18:19] op_sel:[0,0,1] op_sel_hi:[1,0,0]
	v_pk_fma_f32 v[18:19], v[48:49], s[20:21], v[18:19] op_sel:[0,0,1] op_sel_hi:[1,0,0] neg_lo:[0,0,1] neg_hi:[0,0,1]
	v_pk_mul_f32 v[242:243], v[64:65], s[50:51] op_sel_hi:[1,0]
	v_mov_b32_e32 v24, v16
	v_mov_b32_e32 v25, v19
	v_pk_add_f32 v[24:25], v[24:25], v[22:23]
	v_pk_fma_f32 v[88:89], v[60:61], s[10:11], v[242:243] op_sel:[0,0,1] op_sel_hi:[1,0,0]
	v_pk_fma_f32 v[22:23], v[60:61], s[10:11], v[242:243] op_sel:[0,0,1] op_sel_hi:[1,0,0] neg_lo:[0,0,1] neg_hi:[0,0,1]
	v_pk_mul_f32 v[20:21], v[68:69], s[30:31] op_sel_hi:[1,0]
	v_mov_b32_e32 v26, v88
	v_mov_b32_e32 v27, v23
	s_mov_b32 s36, s13
	v_pk_add_f32 v[30:31], v[26:27], v[24:25]
	v_pk_fma_f32 v[24:25], v[62:63], s[16:17], v[20:21] op_sel:[0,0,1] op_sel_hi:[1,0,0]
	v_pk_fma_f32 v[26:27], v[62:63], s[16:17], v[20:21] op_sel:[0,0,1] op_sel_hi:[1,0,0] neg_lo:[0,0,1] neg_hi:[0,0,1]
	v_pk_mul_f32 v[240:241], v[72:73], s[36:37] op_sel_hi:[1,0]
	v_mov_b32_e32 v20, v24
	v_mov_b32_e32 v21, v27
	v_pk_mul_f32 v[252:253], v[112:113], s[40:41]
	s_mov_b32 s40, s19
	v_pk_add_f32 v[32:33], v[20:21], v[30:31]
	v_pk_fma_f32 v[20:21], v[66:67], s[12:13], v[240:241] op_sel:[0,0,1] op_sel_hi:[1,0,0]
	v_pk_fma_f32 v[30:31], v[66:67], s[12:13], v[240:241] op_sel:[0,0,1] op_sel_hi:[1,0,0] neg_lo:[0,0,1] neg_hi:[0,0,1]
	v_pk_mul_f32 v[28:29], v[74:75], s[40:41] op_sel_hi:[1,0]
	v_mov_b32_e32 v34, v20
	v_mov_b32_e32 v35, v31
	s_mov_b32 s42, s15
	v_pk_add_f32 v[36:37], v[34:35], v[32:33]
	v_pk_fma_f32 v[32:33], v[70:71], s[18:19], v[28:29] op_sel:[0,0,1] op_sel_hi:[1,0,0]
	v_pk_fma_f32 v[34:35], v[70:71], s[18:19], v[28:29] op_sel:[0,0,1] op_sel_hi:[1,0,0] neg_lo:[0,0,1] neg_hi:[0,0,1]
	v_pk_mul_f32 v[238:239], v[84:85], s[42:43] op_sel_hi:[1,0]
	v_mov_b32_e32 v28, v32
	v_mov_b32_e32 v29, v35
	v_pk_add_f32 v[28:29], v[28:29], v[36:37]
	v_pk_fma_f32 v[36:37], v[80:81], s[14:15], v[238:239] op_sel:[0,0,1] op_sel_hi:[1,0,0]
	v_pk_fma_f32 v[38:39], v[80:81], s[14:15], v[238:239] op_sel:[0,0,1] op_sel_hi:[1,0,0] neg_lo:[0,0,1] neg_hi:[0,0,1]
	v_mov_b32_e32 v230, v36
	v_mov_b32_e32 v231, v39
	v_mul_u32_u24_e32 v11, 0x88, v44
	v_pk_mul_f32 v[244:245], v[76:77], s[4:5]
	v_pk_add_f32 v[28:29], v[230:231], v[28:29]
	v_add3_u32 v12, 0, v11, v228
	v_pk_mul_f32 v[246:247], v[78:79], s[10:11]
	ds_write2_b64 v12, v[8:9], v[28:29] offset1:1
	v_pk_mul_f32 v[28:29], v[76:77], s[20:21]
	v_pk_add_f32 v[90:91], v[90:91], v[244:245] neg_lo:[0,1] neg_hi:[0,1]
	v_pk_mul_f32 v[232:233], v[76:77], s[10:11]
	v_mov_b32_e32 v88, v83
	v_pk_mul_f32 v[76:77], v[78:79], s[12:13]
	v_mov_b32_e32 v83, v91
	v_pk_add_f32 v[90:91], v[236:237], v[246:247] neg_lo:[0,1] neg_hi:[0,1]
	v_pk_add_f32 v[28:29], v[118:119], v[28:29] neg_lo:[0,1] neg_hi:[0,1]
	v_pk_mul_f32 v[234:235], v[78:79], s[14:15]
	v_pk_mul_f32 v[248:249], v[100:101], s[12:13]
	;; [unrolled: 1-line block ×3, first 2 shown]
	v_pk_add_f32 v[82:83], v[46:47], v[82:83]
	v_mov_b32_e32 v87, v91
	v_mov_b32_e32 v115, v29
	v_pk_add_f32 v[76:77], v[120:121], v[76:77] neg_lo:[0,1] neg_hi:[0,1]
	v_pk_mul_f32 v[250:251], v[106:107], s[14:15]
	v_pk_mul_f32 v[100:101], v[106:107], s[16:17]
	v_pk_add_f32 v[82:83], v[86:87], v[82:83]
	v_pk_add_f32 v[86:87], v[94:95], v[248:249] neg_lo:[0,1] neg_hi:[0,1]
	v_pk_add_f32 v[28:29], v[46:47], v[114:115]
	v_mov_b32_e32 v117, v77
	v_pk_add_f32 v[76:77], v[134:135], v[78:79] neg_lo:[0,1] neg_hi:[0,1]
	v_pk_mul_f32 v[106:107], v[112:113], s[28:29]
	v_mov_b32_e32 v93, v87
	v_pk_add_f32 v[86:87], v[98:99], v[250:251] neg_lo:[0,1] neg_hi:[0,1]
	v_pk_add_f32 v[28:29], v[116:117], v[28:29]
	v_mov_b32_e32 v131, v77
	v_pk_add_f32 v[76:77], v[136:137], v[100:101] neg_lo:[0,1] neg_hi:[0,1]
	v_pk_mul_f32 v[254:255], v[126:127], s[16:17]
	v_mov_b32_e32 v151, v217
	v_pk_mul_f32 v[216:217], v[126:127], s[46:47]
	v_pk_add_f32 v[82:83], v[92:93], v[82:83]
	v_mov_b32_e32 v97, v87
	v_pk_add_f32 v[86:87], v[104:105], v[252:253] neg_lo:[0,1] neg_hi:[0,1]
	v_pk_add_f32 v[28:29], v[130:131], v[28:29]
	v_mov_b32_e32 v133, v77
	v_pk_add_f32 v[76:77], v[140:141], v[106:107] neg_lo:[0,1] neg_hi:[0,1]
	v_pk_mul_f32 v[230:231], v[128:129], s[26:27]
	v_mov_b32_e32 v153, v219
	v_pk_mul_f32 v[218:219], v[128:129], s[10:11]
	v_pk_add_f32 v[82:83], v[96:97], v[82:83]
	;; [unrolled: 9-line block ×3, first 2 shown]
	v_mov_b32_e32 v109, v87
	v_pk_add_f32 v[86:87], v[124:125], v[230:231] neg_lo:[0,1] neg_hi:[0,1]
	v_pk_add_f32 v[28:29], v[138:139], v[28:29]
	v_mov_b32_e32 v143, v77
	v_pk_add_f32 v[76:77], v[148:149], v[218:219] neg_lo:[0,1] neg_hi:[0,1]
	v_pk_add_f32 v[82:83], v[108:109], v[82:83]
	;; [unrolled: 3-line block ×4, first 2 shown]
	v_mov_b32_e32 v189, v9
	v_pk_add_f32 v[28:29], v[144:145], v[28:29]
	v_mov_b32_e32 v157, v77
	v_pk_add_f32 v[8:9], v[188:189], v[82:83]
	v_pk_add_f32 v[28:29], v[156:157], v[28:29]
	ds_write2_b64 v12, v[8:9], v[28:29] offset0:2 offset1:3
	v_pk_add_f32 v[28:29], v[166:167], v[234:235] neg_lo:[0,1] neg_hi:[0,1]
	v_mov_b32_e32 v193, v223
	v_mov_b32_e32 v163, v29
	v_accvgpr_read_b32 v29, a9
	v_accvgpr_read_b32 v28, a8
	v_pk_add_f32 v[28:29], v[170:171], v[28:29] neg_lo:[0,1] neg_hi:[0,1]
	v_pk_mul_f32 v[222:223], v[128:129], s[34:35]
	v_mov_b32_e32 v155, v29
	v_accvgpr_read_b32 v29, a7
	v_accvgpr_read_b32 v28, a6
	v_pk_add_f32 v[28:29], v[174:175], v[28:29] neg_lo:[0,1] neg_hi:[0,1]
	v_pk_mul_f32 v[238:239], v[210:211], s[28:29]
	v_mov_b32_e32 v169, v29
	v_accvgpr_read_b32 v29, a5
	v_accvgpr_read_b32 v28, a4
	v_pk_add_f32 v[28:29], v[178:179], v[28:29] neg_lo:[0,1] neg_hi:[0,1]
	v_pk_add_f32 v[8:9], v[164:165], v[232:233] neg_lo:[0,1] neg_hi:[0,1]
	v_mov_b32_e32 v173, v29
	v_accvgpr_read_b32 v29, a3
	v_accvgpr_read_b32 v28, a2
	v_pk_add_f32 v[28:29], v[180:181], v[28:29] neg_lo:[0,1] neg_hi:[0,1]
	v_mov_b32_e32 v161, v9
	v_mov_b32_e32 v177, v29
	v_pk_add_f32 v[28:29], v[186:187], v[222:223] neg_lo:[0,1] neg_hi:[0,1]
	v_pk_add_f32 v[8:9], v[46:47], v[160:161]
	v_mov_b32_e32 v185, v29
	v_pk_add_f32 v[28:29], v[214:215], v[238:239] neg_lo:[0,1] neg_hi:[0,1]
	v_pk_mul_f32 v[112:113], v[112:113], s[14:15]
	v_mov_b32_e32 v213, v29
	v_pk_add_f32 v[28:29], v[46:47], v[150:151]
	v_pk_add_f32 v[8:9], v[162:163], v[8:9]
	;; [unrolled: 1-line block ×3, first 2 shown]
	v_pk_mul_f32 v[126:127], v[126:127], s[38:39]
	v_pk_add_f32 v[8:9], v[154:155], v[8:9]
	v_pk_add_f32 v[28:29], v[182:183], v[28:29]
	v_pk_add_f32 v[76:77], v[196:197], v[112:113] neg_lo:[0,1] neg_hi:[0,1]
	v_pk_mul_f32 v[128:129], v[128:129], s[46:47]
	v_pk_add_f32 v[8:9], v[168:169], v[8:9]
	v_pk_add_f32 v[28:29], v[192:193], v[28:29]
	v_mov_b32_e32 v195, v77
	v_pk_add_f32 v[76:77], v[198:199], v[126:127] neg_lo:[0,1] neg_hi:[0,1]
	v_pk_mul_f32 v[210:211], v[210:211], s[12:13]
	v_pk_add_f32 v[8:9], v[172:173], v[8:9]
	v_pk_add_f32 v[28:29], v[194:195], v[28:29]
	v_mov_b32_e32 v201, v77
	v_pk_add_f32 v[76:77], v[204:205], v[128:129] neg_lo:[0,1] neg_hi:[0,1]
	v_pk_add_f32 v[8:9], v[176:177], v[8:9]
	v_pk_add_f32 v[28:29], v[200:201], v[28:29]
	v_mov_b32_e32 v203, v77
	v_pk_add_f32 v[76:77], v[208:209], v[210:211] neg_lo:[0,1] neg_hi:[0,1]
	v_pk_add_f32 v[8:9], v[184:185], v[8:9]
	v_pk_add_f32 v[28:29], v[202:203], v[28:29]
	v_mov_b32_e32 v207, v77
	v_pk_add_f32 v[8:9], v[212:213], v[8:9]
	v_pk_add_f32 v[28:29], v[206:207], v[28:29]
	ds_write2_b64 v12, v[8:9], v[28:29] offset0:4 offset1:5
	v_pk_mul_f32 v[8:9], v[54:55], s[36:37] op_sel_hi:[1,0]
	s_mov_b32 s26, s17
	v_pk_mul_f32 v[28:29], v[56:57], s[26:27] op_sel_hi:[1,0]
	v_pk_fma_f32 v[94:95], v[52:53], s[12:13], v[8:9] op_sel:[0,0,1] op_sel_hi:[1,0,0]
	v_pk_fma_f32 v[8:9], v[52:53], s[12:13], v[8:9] op_sel:[0,0,1] op_sel_hi:[1,0,0] neg_lo:[0,0,1] neg_hi:[0,0,1]
	v_mov_b32_e32 v96, v94
	v_mov_b32_e32 v97, v9
	v_pk_fma_f32 v[98:99], v[50:51], s[16:17], v[28:29] op_sel:[0,0,1] op_sel_hi:[1,0,0]
	v_pk_fma_f32 v[28:29], v[50:51], s[16:17], v[28:29] op_sel:[0,0,1] op_sel_hi:[1,0,0] neg_lo:[0,0,1] neg_hi:[0,0,1]
	v_pk_mul_f32 v[76:77], v[58:59], s[48:49] op_sel_hi:[1,0]
	v_pk_add_f32 v[96:97], v[46:47], v[96:97]
	v_mov_b32_e32 v100, v98
	v_mov_b32_e32 v101, v29
	v_pk_add_f32 v[96:97], v[100:101], v[96:97]
	v_pk_fma_f32 v[100:101], v[48:49], s[24:25], v[76:77] op_sel:[0,0,1] op_sel_hi:[1,0,0]
	v_pk_fma_f32 v[76:77], v[48:49], s[24:25], v[76:77] op_sel:[0,0,1] op_sel_hi:[1,0,0] neg_lo:[0,0,1] neg_hi:[0,0,1]
	v_pk_mul_f32 v[78:79], v[64:65], s[40:41] op_sel_hi:[1,0]
	v_mov_b32_e32 v102, v100
	v_mov_b32_e32 v103, v77
	s_mov_b32 s26, s39
	v_pk_add_f32 v[96:97], v[102:103], v[96:97]
	v_pk_fma_f32 v[102:103], v[60:61], s[18:19], v[78:79] op_sel:[0,0,1] op_sel_hi:[1,0,0]
	v_pk_fma_f32 v[78:79], v[60:61], s[18:19], v[78:79] op_sel:[0,0,1] op_sel_hi:[1,0,0] neg_lo:[0,0,1] neg_hi:[0,0,1]
	v_pk_mul_f32 v[82:83], v[68:69], s[26:27] op_sel_hi:[1,0]
	v_mov_b32_e32 v104, v102
	v_mov_b32_e32 v105, v79
	v_pk_add_f32 v[96:97], v[104:105], v[96:97]
	v_pk_fma_f32 v[104:105], v[62:63], s[10:11], v[82:83] op_sel:[0,0,1] op_sel_hi:[1,0,0]
	v_pk_fma_f32 v[82:83], v[62:63], s[10:11], v[82:83] op_sel:[0,0,1] op_sel_hi:[1,0,0] neg_lo:[0,0,1] neg_hi:[0,0,1]
	v_pk_mul_f32 v[86:87], v[72:73], s[52:53] op_sel_hi:[1,0]
	v_mov_b32_e32 v106, v104
	v_mov_b32_e32 v107, v83
	;; [unrolled: 6-line block ×3, first 2 shown]
	s_mov_b32 s28, s27
	v_pk_add_f32 v[96:97], v[108:109], v[96:97]
	v_pk_fma_f32 v[108:109], v[70:71], s[14:15], v[90:91] op_sel:[0,0,1] op_sel_hi:[1,0,0]
	v_pk_fma_f32 v[90:91], v[70:71], s[14:15], v[90:91] op_sel:[0,0,1] op_sel_hi:[1,0,0] neg_lo:[0,0,1] neg_hi:[0,0,1]
	v_pk_mul_f32 v[92:93], v[84:85], s[28:29] op_sel_hi:[1,0]
	v_mov_b32_e32 v110, v108
	v_mov_b32_e32 v111, v91
	v_pk_add_f32 v[96:97], v[110:111], v[96:97]
	v_pk_fma_f32 v[110:111], v[80:81], s[20:21], v[92:93] op_sel:[0,0,1] op_sel_hi:[1,0,0]
	v_pk_fma_f32 v[92:93], v[80:81], s[20:21], v[92:93] op_sel:[0,0,1] op_sel_hi:[1,0,0] neg_lo:[0,0,1] neg_hi:[0,0,1]
	v_mov_b32_e32 v112, v110
	v_mov_b32_e32 v113, v93
	v_pk_add_f32 v[96:97], v[112:113], v[96:97]
	v_pk_mul_f32 v[112:113], v[54:55], s[40:41] op_sel_hi:[1,0]
	v_pk_mul_f32 v[114:115], v[56:57], s[28:29] op_sel_hi:[1,0]
	v_pk_fma_f32 v[128:129], v[52:53], s[18:19], v[112:113] op_sel:[0,0,1] op_sel_hi:[1,0,0]
	v_pk_fma_f32 v[112:113], v[52:53], s[18:19], v[112:113] op_sel:[0,0,1] op_sel_hi:[1,0,0] neg_lo:[0,0,1] neg_hi:[0,0,1]
	v_mov_b32_e32 v130, v128
	v_mov_b32_e32 v131, v113
	v_pk_fma_f32 v[132:133], v[50:51], s[20:21], v[114:115] op_sel:[0,0,1] op_sel_hi:[1,0,0]
	v_pk_fma_f32 v[114:115], v[50:51], s[20:21], v[114:115] op_sel:[0,0,1] op_sel_hi:[1,0,0] neg_lo:[0,0,1] neg_hi:[0,0,1]
	v_pk_mul_f32 v[116:117], v[58:59], s[50:51] op_sel_hi:[1,0]
	v_pk_add_f32 v[130:131], v[46:47], v[130:131]
	v_mov_b32_e32 v134, v132
	v_mov_b32_e32 v135, v115
	s_mov_b32 s34, s35
	v_pk_add_f32 v[130:131], v[134:135], v[130:131]
	v_pk_fma_f32 v[134:135], v[48:49], s[10:11], v[116:117] op_sel:[0,0,1] op_sel_hi:[1,0,0]
	v_pk_fma_f32 v[116:117], v[48:49], s[10:11], v[116:117] op_sel:[0,0,1] op_sel_hi:[1,0,0] neg_lo:[0,0,1] neg_hi:[0,0,1]
	v_pk_mul_f32 v[118:119], v[64:65], s[34:35] op_sel_hi:[1,0]
	v_mov_b32_e32 v136, v134
	v_mov_b32_e32 v137, v117
	v_pk_add_f32 v[130:131], v[136:137], v[130:131]
	v_pk_fma_f32 v[136:137], v[60:61], s[12:13], v[118:119] op_sel:[0,0,1] op_sel_hi:[1,0,0]
	v_pk_fma_f32 v[118:119], v[60:61], s[12:13], v[118:119] op_sel:[0,0,1] op_sel_hi:[1,0,0] neg_lo:[0,0,1] neg_hi:[0,0,1]
	v_pk_mul_f32 v[120:121], v[68:69], s[48:49] op_sel_hi:[1,0]
	v_mov_b32_e32 v138, v136
	v_mov_b32_e32 v139, v119
	;; [unrolled: 6-line block ×3, first 2 shown]
	s_mov_b32 s34, s29
	v_pk_add_f32 v[130:131], v[140:141], v[130:131]
	v_pk_fma_f32 v[140:141], v[66:67], s[14:15], v[122:123] op_sel:[0,0,1] op_sel_hi:[1,0,0]
	v_pk_fma_f32 v[122:123], v[66:67], s[14:15], v[122:123] op_sel:[0,0,1] op_sel_hi:[1,0,0] neg_lo:[0,0,1] neg_hi:[0,0,1]
	v_pk_mul_f32 v[124:125], v[74:75], s[34:35] op_sel_hi:[1,0]
	v_mov_b32_e32 v142, v140
	v_mov_b32_e32 v143, v123
	v_pk_add_f32 v[130:131], v[142:143], v[130:131]
	v_pk_fma_f32 v[142:143], v[70:71], s[4:5], v[124:125] op_sel:[0,0,1] op_sel_hi:[1,0,0]
	v_pk_fma_f32 v[124:125], v[70:71], s[4:5], v[124:125] op_sel:[0,0,1] op_sel_hi:[1,0,0] neg_lo:[0,0,1] neg_hi:[0,0,1]
	v_pk_mul_f32 v[126:127], v[84:85], s[30:31] op_sel_hi:[1,0]
	v_mov_b32_e32 v144, v142
	v_mov_b32_e32 v145, v125
	v_pk_add_f32 v[130:131], v[144:145], v[130:131]
	v_pk_fma_f32 v[144:145], v[80:81], s[16:17], v[126:127] op_sel:[0,0,1] op_sel_hi:[1,0,0]
	v_pk_fma_f32 v[126:127], v[80:81], s[16:17], v[126:127] op_sel:[0,0,1] op_sel_hi:[1,0,0] neg_lo:[0,0,1] neg_hi:[0,0,1]
	v_mov_b32_e32 v146, v144
	v_mov_b32_e32 v147, v127
	v_pk_add_f32 v[130:131], v[146:147], v[130:131]
	v_pk_mul_f32 v[54:55], v[54:55], s[42:43] op_sel_hi:[1,0]
	s_mov_b32 s38, s25
	ds_write2_b64 v12, v[96:97], v[130:131] offset0:6 offset1:7
	v_pk_mul_f32 v[56:57], v[56:57], s[38:39] op_sel_hi:[1,0]
	v_pk_fma_f32 v[96:97], v[52:53], s[14:15], v[54:55] op_sel:[0,0,1] op_sel_hi:[1,0,0]
	v_pk_fma_f32 v[52:53], v[52:53], s[14:15], v[54:55] op_sel:[0,0,1] op_sel_hi:[1,0,0] neg_lo:[0,0,1] neg_hi:[0,0,1]
	v_mov_b32_e32 v54, v96
	v_mov_b32_e32 v55, v53
	v_pk_fma_f32 v[130:131], v[50:51], s[24:25], v[56:57] op_sel:[0,0,1] op_sel_hi:[1,0,0]
	v_pk_fma_f32 v[50:51], v[50:51], s[24:25], v[56:57] op_sel:[0,0,1] op_sel_hi:[1,0,0] neg_lo:[0,0,1] neg_hi:[0,0,1]
	v_pk_mul_f32 v[58:59], v[58:59], s[40:41] op_sel_hi:[1,0]
	v_pk_add_f32 v[54:55], v[46:47], v[54:55]
	v_mov_b32_e32 v56, v130
	v_mov_b32_e32 v57, v51
	v_pk_add_f32 v[54:55], v[56:57], v[54:55]
	v_pk_fma_f32 v[56:57], v[48:49], s[18:19], v[58:59] op_sel:[0,0,1] op_sel_hi:[1,0,0]
	v_pk_fma_f32 v[48:49], v[48:49], s[18:19], v[58:59] op_sel:[0,0,1] op_sel_hi:[1,0,0] neg_lo:[0,0,1] neg_hi:[0,0,1]
	v_pk_mul_f32 v[64:65], v[64:65], s[34:35] op_sel_hi:[1,0]
	v_mov_b32_e32 v58, v56
	v_mov_b32_e32 v59, v49
	v_pk_add_f32 v[54:55], v[58:59], v[54:55]
	v_pk_fma_f32 v[58:59], v[60:61], s[4:5], v[64:65] op_sel:[0,0,1] op_sel_hi:[1,0,0]
	v_pk_fma_f32 v[60:61], v[60:61], s[4:5], v[64:65] op_sel:[0,0,1] op_sel_hi:[1,0,0] neg_lo:[0,0,1] neg_hi:[0,0,1]
	v_pk_mul_f32 v[68:69], v[68:69], s[36:37] op_sel_hi:[1,0]
	v_mov_b32_e32 v64, v58
	v_mov_b32_e32 v65, v61
	v_pk_add_f32 v[54:55], v[64:65], v[54:55]
	v_pk_fma_f32 v[64:65], v[62:63], s[12:13], v[68:69] op_sel:[0,0,1] op_sel_hi:[1,0,0]
	v_pk_fma_f32 v[62:63], v[62:63], s[12:13], v[68:69] op_sel:[0,0,1] op_sel_hi:[1,0,0] neg_lo:[0,0,1] neg_hi:[0,0,1]
	v_mov_b32_e32 v53, v97
	v_pk_mul_f32 v[72:73], v[72:73], s[28:29] op_sel_hi:[1,0]
	v_mov_b32_e32 v68, v64
	v_mov_b32_e32 v69, v63
	v_pk_add_f32 v[52:53], v[46:47], v[52:53]
	v_mov_b32_e32 v51, v131
	v_pk_add_f32 v[54:55], v[68:69], v[54:55]
	v_pk_fma_f32 v[68:69], v[66:67], s[20:21], v[72:73] op_sel:[0,0,1] op_sel_hi:[1,0,0]
	v_pk_fma_f32 v[66:67], v[66:67], s[20:21], v[72:73] op_sel:[0,0,1] op_sel_hi:[1,0,0] neg_lo:[0,0,1] neg_hi:[0,0,1]
	v_pk_add_f32 v[50:51], v[50:51], v[52:53]
	v_mov_b32_e32 v49, v57
	v_pk_mul_f32 v[74:75], v[74:75], s[30:31] op_sel_hi:[1,0]
	v_mov_b32_e32 v72, v68
	v_mov_b32_e32 v73, v67
	v_pk_add_f32 v[48:49], v[48:49], v[50:51]
	v_mov_b32_e32 v61, v59
	v_pk_add_f32 v[54:55], v[72:73], v[54:55]
	v_pk_fma_f32 v[72:73], v[70:71], s[16:17], v[74:75] op_sel:[0,0,1] op_sel_hi:[1,0,0]
	v_pk_fma_f32 v[70:71], v[70:71], s[16:17], v[74:75] op_sel:[0,0,1] op_sel_hi:[1,0,0] neg_lo:[0,0,1] neg_hi:[0,0,1]
	v_pk_add_f32 v[48:49], v[60:61], v[48:49]
	v_mov_b32_e32 v63, v65
	v_pk_mul_f32 v[84:85], v[84:85], s[26:27] op_sel_hi:[1,0]
	v_mov_b32_e32 v74, v72
	v_mov_b32_e32 v75, v71
	v_pk_add_f32 v[48:49], v[62:63], v[48:49]
	v_mov_b32_e32 v67, v69
	v_pk_add_f32 v[54:55], v[74:75], v[54:55]
	v_pk_fma_f32 v[74:75], v[80:81], s[10:11], v[84:85] op_sel:[0,0,1] op_sel_hi:[1,0,0]
	v_pk_fma_f32 v[80:81], v[80:81], s[10:11], v[84:85] op_sel:[0,0,1] op_sel_hi:[1,0,0] neg_lo:[0,0,1] neg_hi:[0,0,1]
	v_pk_add_f32 v[48:49], v[66:67], v[48:49]
	v_mov_b32_e32 v71, v73
	v_mov_b32_e32 v84, v74
	;; [unrolled: 1-line block ×3, first 2 shown]
	v_pk_add_f32 v[48:49], v[70:71], v[48:49]
	v_mov_b32_e32 v81, v75
	v_pk_add_f32 v[54:55], v[84:85], v[54:55]
	v_pk_add_f32 v[48:49], v[80:81], v[48:49]
	v_mov_b32_e32 v113, v129
	v_mov_b32_e32 v9, v95
	ds_write2_b64 v12, v[54:55], v[48:49] offset0:8 offset1:9
	v_pk_add_f32 v[48:49], v[46:47], v[112:113]
	v_mov_b32_e32 v115, v133
	v_pk_add_f32 v[8:9], v[46:47], v[8:9]
	v_mov_b32_e32 v29, v99
	;; [unrolled: 2-line block ×14, first 2 shown]
	v_pk_add_f32 v[48:49], v[126:127], v[48:49]
	v_pk_add_f32 v[8:9], v[92:93], v[8:9]
	v_accvgpr_read_b32 v11, a1
	ds_write2_b64 v12, v[48:49], v[8:9] offset0:10 offset1:11
	ds_write2_b64 v12, v[4:5], v[6:7] offset0:12 offset1:13
	;; [unrolled: 1-line block ×3, first 2 shown]
	v_pk_add_f32 v[8:9], v[46:47], v[10:11]
	v_mov_b32_e32 v15, v13
	v_pk_add_f32 v[8:9], v[14:15], v[8:9]
	v_mov_b32_e32 v19, v17
	v_pk_add_f32 v[8:9], v[18:19], v[8:9]
	v_mov_b32_e32 v23, v89
	v_pk_add_f32 v[8:9], v[22:23], v[8:9]
	v_mov_b32_e32 v27, v25
	v_pk_add_f32 v[8:9], v[26:27], v[8:9]
	v_mov_b32_e32 v31, v21
	v_pk_add_f32 v[8:9], v[30:31], v[8:9]
	v_mov_b32_e32 v35, v33
	v_pk_add_f32 v[8:9], v[34:35], v[8:9]
	v_mov_b32_e32 v39, v37
	v_pk_add_f32 v[8:9], v[38:39], v[8:9]
	ds_write_b64 v12, v[8:9] offset:128
.LBB0_14:
	s_or_b64 exec, exec, s[22:23]
	v_add_u32_e32 v8, 0x400, v227
	s_waitcnt lgkmcnt(0)
	s_barrier
	ds_read2_b64 v[12:15], v8 offset0:110 offset1:178
	ds_read2_b64 v[16:19], v224 offset0:118 offset1:220
	;; [unrolled: 1-line block ×5, first 2 shown]
	ds_read_b64 v[28:29], v225
	ds_read_b64 v[30:31], v227 offset:6800
	v_cmp_gt_u32_e32 vcc, 34, v44
	s_and_saveexec_b64 s[4:5], vcc
	s_cbranch_execz .LBB0_16
; %bb.15:
	v_add_u32_e32 v0, 0x600, v227
	ds_read2_b64 v[4:7], v0 offset0:12 offset1:250
	v_add_u32_e32 v0, 0x1500, v227
	ds_read2_b64 v[0:3], v0 offset0:8 offset1:246
.LBB0_16:
	s_or_b64 exec, exec, s[4:5]
	s_movk_i32 s10, 0xf1
	v_add_u16_e32 v33, 0x44, v44
	v_mul_lo_u16_sdwa v34, v33, s10 dst_sel:DWORD dst_unused:UNUSED_PAD src0_sel:BYTE_0 src1_sel:DWORD
	v_lshrrev_b16_e32 v61, 12, v34
	v_mul_lo_u16_e32 v34, 17, v61
	v_sub_u16_e32 v62, v33, v34
	v_add_u16_e32 v33, 0x88, v44
	v_mul_lo_u16_sdwa v32, v44, s10 dst_sel:DWORD dst_unused:UNUSED_PAD src0_sel:BYTE_0 src1_sel:DWORD
	v_mul_lo_u16_sdwa v35, v33, s10 dst_sel:DWORD dst_unused:UNUSED_PAD src0_sel:BYTE_0 src1_sel:DWORD
	v_lshrrev_b16_e32 v45, 12, v32
	v_lshrrev_b16_e32 v63, 12, v35
	v_mul_lo_u16_e32 v32, 17, v45
	v_mul_lo_u16_e32 v35, 17, v63
	v_sub_u16_e32 v60, v44, v32
	v_mov_b32_e32 v32, 3
	v_sub_u16_e32 v64, v33, v35
	v_mul_u32_u24_sdwa v34, v62, v32 dst_sel:DWORD dst_unused:UNUSED_PAD src0_sel:BYTE_0 src1_sel:DWORD
	v_mul_u32_u24_sdwa v35, v64, v32 dst_sel:DWORD dst_unused:UNUSED_PAD src0_sel:BYTE_0 src1_sel:DWORD
	v_lshlrev_b32_e32 v35, 3, v35
	v_lshlrev_b32_e32 v34, 3, v34
	global_load_dwordx2 v[54:55], v35, s[8:9] offset:16
	global_load_dwordx4 v[36:39], v35, s[8:9]
	global_load_dwordx2 v[56:57], v34, s[8:9] offset:16
	global_load_dwordx4 v[46:49], v34, s[8:9]
	v_mul_u32_u24_sdwa v34, v60, v32 dst_sel:DWORD dst_unused:UNUSED_PAD src0_sel:BYTE_0 src1_sel:DWORD
	v_lshlrev_b32_e32 v34, 3, v34
	global_load_dwordx4 v[50:53], v34, s[8:9]
	global_load_dwordx2 v[58:59], v34, s[8:9] offset:16
	s_movk_i32 s12, 0x220
	v_mad_u32_u24 v45, v45, s12, 0
	v_mad_u32_u24 v61, v61, s12, 0
	;; [unrolled: 1-line block ×3, first 2 shown]
	v_lshlrev_b32_sdwa v60, v32, v60 dst_sel:DWORD dst_unused:UNUSED_PAD src0_sel:DWORD src1_sel:BYTE_0
	v_lshlrev_b32_sdwa v62, v32, v62 dst_sel:DWORD dst_unused:UNUSED_PAD src0_sel:DWORD src1_sel:BYTE_0
	;; [unrolled: 1-line block ×3, first 2 shown]
	v_add3_u32 v45, v45, v60, v228
	v_add3_u32 v80, v61, v62, v228
	v_add3_u32 v81, v63, v64, v228
	s_load_dwordx2 s[2:3], s[2:3], 0x0
	s_waitcnt lgkmcnt(0)
	s_barrier
	v_add_u32_e32 v34, 0xcc, v44
	s_mov_b32 s11, 0xf0f1
	v_mul_u32_u24_sdwa v35, v34, s11 dst_sel:DWORD dst_unused:UNUSED_PAD src0_sel:WORD_0 src1_sel:DWORD
	s_waitcnt vmcnt(5)
	v_pk_mul_f32 v[64:65], v[30:31], v[54:55] op_sel:[0,1]
	s_waitcnt vmcnt(4)
	v_pk_mul_f32 v[60:61], v[36:37], v[16:17] op_sel:[0,1]
	v_pk_mul_f32 v[62:63], v[38:39], v[26:27] op_sel:[0,1]
	s_waitcnt vmcnt(2)
	v_pk_mul_f32 v[66:67], v[46:47], v[14:15] op_sel:[0,1]
	v_pk_mul_f32 v[68:69], v[48:49], v[24:25] op_sel:[0,1]
	v_pk_mul_f32 v[70:71], v[56:57], v[22:23] op_sel:[0,1]
	s_waitcnt vmcnt(1)
	v_pk_mul_f32 v[72:73], v[50:51], v[12:13] op_sel:[0,1]
	v_pk_mul_f32 v[74:75], v[52:53], v[18:19] op_sel:[0,1]
	s_waitcnt vmcnt(0)
	v_pk_mul_f32 v[76:77], v[58:59], v[20:21] op_sel:[0,1]
	v_pk_fma_f32 v[78:79], v[36:37], v[16:17], v[60:61] op_sel:[0,0,1] op_sel_hi:[1,1,0]
	v_pk_fma_f32 v[16:17], v[36:37], v[16:17], v[60:61] op_sel:[0,0,1] op_sel_hi:[1,0,0] neg_lo:[1,0,0] neg_hi:[1,0,0]
	v_pk_fma_f32 v[36:37], v[38:39], v[26:27], v[62:63] op_sel:[0,0,1] op_sel_hi:[1,1,0]
	v_pk_fma_f32 v[26:27], v[38:39], v[26:27], v[62:63] op_sel:[0,0,1] op_sel_hi:[1,0,0] neg_lo:[1,0,0] neg_hi:[1,0,0]
	;; [unrolled: 2-line block ×9, first 2 shown]
	v_mov_b32_e32 v57, v13
	v_mov_b32_e32 v51, v19
	;; [unrolled: 1-line block ×5, first 2 shown]
	v_pk_add_f32 v[20:21], v[28:29], v[50:51] neg_lo:[0,1] neg_hi:[0,1]
	v_pk_add_f32 v[22:23], v[56:57], v[52:53] neg_lo:[0,1] neg_hi:[0,1]
	v_mov_b32_e32 v39, v31
	v_pk_add_f32 v[12:13], v[10:11], v[36:37] neg_lo:[0,1] neg_hi:[0,1]
	v_pk_fma_f32 v[28:29], v[28:29], 2.0, v[20:21] op_sel_hi:[1,0,1] neg_lo:[0,0,1] neg_hi:[0,0,1]
	v_pk_fma_f32 v[30:31], v[56:57], 2.0, v[22:23] op_sel_hi:[1,0,1] neg_lo:[0,0,1] neg_hi:[0,0,1]
	v_pk_add_f32 v[36:37], v[20:21], v[22:23] op_sel:[0,1] op_sel_hi:[1,0]
	v_pk_add_f32 v[22:23], v[20:21], v[22:23] op_sel:[0,1] op_sel_hi:[1,0] neg_lo:[0,1] neg_hi:[0,1]
	v_mov_b32_e32 v55, v15
	v_mov_b32_e32 v47, v25
	v_pk_add_f32 v[30:31], v[28:29], v[30:31] neg_lo:[0,1] neg_hi:[0,1]
	v_mov_b32_e32 v37, v23
	v_mov_b32_e32 v79, v17
	v_pk_add_f32 v[16:17], v[8:9], v[46:47] neg_lo:[0,1] neg_hi:[0,1]
	v_pk_add_f32 v[18:19], v[54:55], v[48:49] neg_lo:[0,1] neg_hi:[0,1]
	v_pk_fma_f32 v[28:29], v[28:29], 2.0, v[30:31] op_sel_hi:[1,0,1] neg_lo:[0,0,1] neg_hi:[0,0,1]
	v_pk_fma_f32 v[20:21], v[20:21], 2.0, v[36:37] op_sel_hi:[1,0,1] neg_lo:[0,0,1] neg_hi:[0,0,1]
	;; [unrolled: 1-line block ×4, first 2 shown]
	ds_write2_b64 v45, v[28:29], v[20:21] offset1:17
	ds_write2_b64 v45, v[30:31], v[36:37] offset0:34 offset1:51
	v_pk_add_f32 v[20:21], v[16:17], v[18:19] op_sel:[0,1] op_sel_hi:[1,0]
	v_pk_add_f32 v[18:19], v[16:17], v[18:19] op_sel:[0,1] op_sel_hi:[1,0] neg_lo:[0,1] neg_hi:[0,1]
	v_pk_add_f32 v[26:27], v[8:9], v[26:27] neg_lo:[0,1] neg_hi:[0,1]
	v_mov_b32_e32 v21, v19
	v_pk_add_f32 v[14:15], v[78:79], v[38:39] neg_lo:[0,1] neg_hi:[0,1]
	v_pk_fma_f32 v[8:9], v[8:9], 2.0, v[26:27] op_sel_hi:[1,0,1] neg_lo:[0,0,1] neg_hi:[0,0,1]
	v_pk_fma_f32 v[16:17], v[16:17], 2.0, v[20:21] op_sel_hi:[1,0,1] neg_lo:[0,0,1] neg_hi:[0,0,1]
	;; [unrolled: 1-line block ×4, first 2 shown]
	ds_write2_b64 v80, v[8:9], v[16:17] offset1:17
	ds_write2_b64 v80, v[26:27], v[20:21] offset0:34 offset1:51
	v_pk_add_f32 v[8:9], v[12:13], v[14:15] op_sel:[0,1] op_sel_hi:[1,0]
	v_pk_add_f32 v[14:15], v[12:13], v[14:15] op_sel:[0,1] op_sel_hi:[1,0] neg_lo:[0,1] neg_hi:[0,1]
	v_pk_add_f32 v[24:25], v[10:11], v[24:25] neg_lo:[0,1] neg_hi:[0,1]
	v_mov_b32_e32 v9, v15
	v_pk_fma_f32 v[10:11], v[10:11], 2.0, v[24:25] op_sel_hi:[1,0,1] neg_lo:[0,0,1] neg_hi:[0,0,1]
	v_pk_fma_f32 v[12:13], v[12:13], 2.0, v[8:9] op_sel_hi:[1,0,1] neg_lo:[0,0,1] neg_hi:[0,0,1]
	ds_write2_b64 v81, v[10:11], v[12:13] offset1:17
	ds_write2_b64 v81, v[24:25], v[8:9] offset0:34 offset1:51
	s_and_saveexec_b64 s[4:5], vcc
	s_cbranch_execz .LBB0_18
; %bb.17:
	v_lshrrev_b32_e32 v8, 20, v35
	v_mul_lo_u16_e32 v8, 17, v8
	v_sub_u16_e32 v14, v34, v8
	v_mul_u32_u24_e32 v8, 3, v14
	v_lshlrev_b32_e32 v15, 3, v8
	global_load_dwordx4 v[8:11], v15, s[8:9]
	global_load_dwordx2 v[12:13], v15, s[8:9] offset:16
	v_mul_lo_u16_sdwa v15, v34, s10 dst_sel:DWORD dst_unused:UNUSED_PAD src0_sel:BYTE_0 src1_sel:DWORD
	v_lshrrev_b16_e32 v15, 12, v15
	v_mad_u32_u24 v15, v15, s12, 0
	v_lshlrev_b32_e32 v14, 3, v14
	v_add3_u32 v22, v15, v14, v228
	s_waitcnt vmcnt(1)
	v_pk_mul_f32 v[14:15], v[0:1], v[10:11] op_sel:[1,0]
	v_pk_mul_f32 v[16:17], v[6:7], v[8:9] op_sel:[1,0]
	s_waitcnt vmcnt(0)
	v_pk_mul_f32 v[18:19], v[2:3], v[12:13] op_sel:[1,0]
	v_pk_fma_f32 v[20:21], v[0:1], v[10:11], v[14:15] op_sel:[0,0,1] op_sel_hi:[1,1,0]
	v_pk_fma_f32 v[0:1], v[0:1], v[10:11], v[14:15] op_sel:[0,0,1] op_sel_hi:[0,1,0] neg_lo:[1,0,0] neg_hi:[1,0,0]
	v_pk_fma_f32 v[10:11], v[6:7], v[8:9], v[16:17] op_sel:[0,0,1] op_sel_hi:[1,1,0]
	v_pk_fma_f32 v[6:7], v[6:7], v[8:9], v[16:17] op_sel:[0,0,1] op_sel_hi:[0,1,0] neg_lo:[1,0,0] neg_hi:[1,0,0]
	v_pk_fma_f32 v[8:9], v[2:3], v[12:13], v[18:19] op_sel:[0,0,1] op_sel_hi:[1,1,0]
	v_pk_fma_f32 v[2:3], v[2:3], v[12:13], v[18:19] op_sel:[0,0,1] op_sel_hi:[0,1,0] neg_lo:[1,0,0] neg_hi:[1,0,0]
	v_mov_b32_e32 v21, v1
	v_mov_b32_e32 v11, v7
	;; [unrolled: 1-line block ×3, first 2 shown]
	v_pk_add_f32 v[0:1], v[4:5], v[20:21] neg_lo:[0,1] neg_hi:[0,1]
	v_pk_add_f32 v[2:3], v[10:11], v[8:9] neg_lo:[0,1] neg_hi:[0,1]
	v_pk_fma_f32 v[4:5], v[4:5], 2.0, v[0:1] op_sel_hi:[1,0,1] neg_lo:[0,0,1] neg_hi:[0,0,1]
	v_pk_fma_f32 v[6:7], v[10:11], 2.0, v[2:3] op_sel_hi:[1,0,1] neg_lo:[0,0,1] neg_hi:[0,0,1]
	v_pk_add_f32 v[8:9], v[0:1], v[2:3] op_sel:[0,1] op_sel_hi:[1,0]
	v_pk_add_f32 v[2:3], v[0:1], v[2:3] op_sel:[0,1] op_sel_hi:[1,0] neg_lo:[0,1] neg_hi:[0,1]
	v_pk_add_f32 v[6:7], v[4:5], v[6:7] neg_lo:[0,1] neg_hi:[0,1]
	v_mov_b32_e32 v9, v3
	v_pk_fma_f32 v[2:3], v[4:5], 2.0, v[6:7] op_sel_hi:[1,0,1] neg_lo:[0,0,1] neg_hi:[0,0,1]
	v_pk_fma_f32 v[0:1], v[0:1], 2.0, v[8:9] op_sel_hi:[1,0,1] neg_lo:[0,0,1] neg_hi:[0,0,1]
	ds_write2_b64 v22, v[2:3], v[0:1] offset1:17
	ds_write2_b64 v22, v[6:7], v[8:9] offset0:34 offset1:51
.LBB0_18:
	s_or_b64 exec, exec, s[4:5]
	v_add_u32_e32 v3, 0x154, v44
	v_mul_u32_u24_sdwa v7, v3, s11 dst_sel:DWORD dst_unused:UNUSED_PAD src0_sel:WORD_0 src1_sel:DWORD
	v_lshrrev_b32_e32 v7, 22, v7
	v_mul_lo_u16_e32 v7, 0x44, v7
	v_add_u32_e32 v4, 0x198, v44
	v_sub_u16_e32 v3, v3, v7
	v_lshrrev_b32_e32 v5, 22, v35
	v_lshlrev_b32_e32 v46, 3, v3
	v_mul_u32_u24_sdwa v3, v4, s11 dst_sel:DWORD dst_unused:UNUSED_PAD src0_sel:WORD_0 src1_sel:DWORD
	v_add_u32_e32 v2, 0x110, v44
	v_mul_lo_u16_e32 v5, 0x44, v5
	v_lshrrev_b32_e32 v3, 22, v3
	v_mov_b32_e32 v45, 0
	v_sub_u16_e32 v5, v34, v5
	v_mul_u32_u24_sdwa v6, v2, s11 dst_sel:DWORD dst_unused:UNUSED_PAD src0_sel:WORD_0 src1_sel:DWORD
	v_mul_lo_u16_e32 v3, 0x44, v3
	v_lshl_add_u64 v[0:1], v[44:45], 3, s[8:9]
	v_lshrrev_b32_e32 v6, 22, v6
	v_sub_u16_e32 v3, v4, v3
	v_lshlrev_b32_e32 v48, 3, v5
	s_waitcnt lgkmcnt(0)
	s_barrier
	v_lshlrev_b32_e32 v47, 3, v3
	global_load_dwordx2 v[24:25], v48, s[8:9] offset:408
	global_load_dwordx2 v[26:27], v46, s[8:9] offset:408
	;; [unrolled: 1-line block ×3, first 2 shown]
	global_load_dwordx2 v[30:31], v[0:1], off offset:408
	v_mul_lo_u16_e32 v0, 0x44, v6
	v_sub_u16_e32 v0, v2, v0
	s_movk_i32 s4, 0x79
	v_lshlrev_b32_e32 v49, 3, v0
	v_mul_lo_u16_sdwa v0, v33, s4 dst_sel:DWORD dst_unused:UNUSED_PAD src0_sel:BYTE_0 src1_sel:DWORD
	v_lshrrev_b16_e32 v0, 13, v0
	v_mul_lo_u16_e32 v0, 0x44, v0
	v_sub_u16_e32 v0, v33, v0
	v_lshlrev_b32_sdwa v50, v32, v0 dst_sel:DWORD dst_unused:UNUSED_PAD src0_sel:DWORD src1_sel:BYTE_0
	global_load_dwordx2 v[34:35], v49, s[8:9] offset:408
	global_load_dwordx2 v[32:33], v50, s[8:9] offset:408
	ds_read2_b64 v[0:3], v227 offset0:68 offset1:136
	ds_read_b64 v[36:37], v225
	ds_read_b64 v[38:39], v227 offset:7072
	v_add_u32_e32 v83, 0xc00, v227
	v_add_u32_e32 v58, 0x1000, v227
	;; [unrolled: 1-line block ×5, first 2 shown]
	ds_read2_b64 v[4:7], v83 offset0:92 offset1:160
	ds_read2_b64 v[8:11], v58 offset0:100 offset1:168
	ds_read2_b64 v[12:15], v59 offset0:84 offset1:152
	ds_read2_b64 v[16:19], v84 offset0:108 offset1:176
	ds_read2_b64 v[20:23], v85 offset0:76 offset1:144
	v_add3_u32 v61, 0, v46, v228
	v_add3_u32 v62, 0, v47, v228
	;; [unrolled: 1-line block ×5, first 2 shown]
	s_waitcnt lgkmcnt(0)
	s_barrier
	s_mov_b64 s[4:5], 0x1078
	s_mov_b32 s18, 0x3f08b237
	s_mov_b32 s14, 0x3d64c772
	;; [unrolled: 1-line block ×10, first 2 shown]
	s_waitcnt vmcnt(5)
	v_pk_mul_f32 v[46:47], v[24:25], v[10:11] op_sel:[0,1]
	s_nop 0
	v_pk_fma_f32 v[48:49], v[24:25], v[10:11], v[46:47] op_sel:[0,0,1] op_sel_hi:[1,1,0]
	v_pk_fma_f32 v[10:11], v[24:25], v[10:11], v[46:47] op_sel:[0,0,1] op_sel_hi:[1,0,0] neg_lo:[1,0,0] neg_hi:[1,0,0]
	s_waitcnt vmcnt(2)
	v_pk_mul_f32 v[24:25], v[30:31], v[4:5] op_sel:[0,1]
	v_pk_mul_f32 v[46:47], v[30:31], v[6:7] op_sel:[0,1]
	;; [unrolled: 1-line block ×3, first 2 shown]
	v_mov_b32_e32 v49, v11
	v_pk_fma_f32 v[10:11], v[30:31], v[4:5], v[24:25] op_sel:[0,0,1] op_sel_hi:[1,1,0]
	v_pk_fma_f32 v[4:5], v[30:31], v[4:5], v[24:25] op_sel:[0,0,1] op_sel_hi:[1,0,0] neg_lo:[1,0,0] neg_hi:[1,0,0]
	v_pk_fma_f32 v[24:25], v[30:31], v[6:7], v[46:47] op_sel:[0,0,1] op_sel_hi:[1,1,0]
	v_pk_fma_f32 v[6:7], v[30:31], v[6:7], v[46:47] op_sel:[0,0,1] op_sel_hi:[1,0,0] neg_lo:[1,0,0] neg_hi:[1,0,0]
	;; [unrolled: 2-line block ×3, first 2 shown]
	v_mov_b32_e32 v11, v5
	v_mov_b32_e32 v31, v29
	s_waitcnt vmcnt(0)
	v_pk_mul_f32 v[28:29], v[32:33], v[8:9] op_sel:[0,1]
	v_pk_mul_f32 v[52:53], v[18:19], v[26:27] op_sel:[0,1]
	;; [unrolled: 1-line block ×3, first 2 shown]
	v_mov_b32_e32 v25, v7
	v_pk_add_f32 v[4:5], v[36:37], v[10:11] neg_lo:[0,1] neg_hi:[0,1]
	v_pk_add_f32 v[10:11], v[14:15], v[30:31] neg_lo:[0,1] neg_hi:[0,1]
	v_pk_fma_f32 v[30:31], v[32:33], v[8:9], v[28:29] op_sel:[0,0,1] op_sel_hi:[1,1,0]
	v_pk_fma_f32 v[8:9], v[32:33], v[8:9], v[28:29] op_sel:[0,0,1] op_sel_hi:[1,0,0] neg_lo:[1,0,0] neg_hi:[1,0,0]
	v_pk_fma_f32 v[38:39], v[18:19], v[26:27], v[52:53] op_sel:[0,0,1] op_sel_hi:[1,1,0]
	v_pk_fma_f32 v[18:19], v[18:19], v[26:27], v[52:53] op_sel:[0,0,1] op_sel_hi:[1,0,0] neg_lo:[0,0,1] neg_hi:[0,0,1]
	;; [unrolled: 2-line block ×3, first 2 shown]
	v_pk_add_f32 v[6:7], v[0:1], v[24:25] neg_lo:[0,1] neg_hi:[0,1]
	v_mov_b32_e32 v31, v9
	v_mov_b32_e32 v27, v17
	v_pk_fma_f32 v[24:25], v[36:37], 2.0, v[4:5] op_sel_hi:[1,0,1] neg_lo:[0,0,1] neg_hi:[0,0,1]
	v_pk_fma_f32 v[0:1], v[0:1], 2.0, v[6:7] op_sel_hi:[1,0,1] neg_lo:[0,0,1] neg_hi:[0,0,1]
	v_pk_add_f32 v[8:9], v[2:3], v[30:31] neg_lo:[0,1] neg_hi:[0,1]
	v_mov_b32_e32 v39, v19
	v_pk_add_f32 v[18:19], v[22:23], v[26:27] neg_lo:[0,1] neg_hi:[0,1]
	v_pk_add_f32 v[26:27], v[20:21], v[48:49] neg_lo:[0,1] neg_hi:[0,1]
	v_pk_fma_f32 v[2:3], v[2:3], 2.0, v[8:9] op_sel_hi:[1,0,1] neg_lo:[0,0,1] neg_hi:[0,0,1]
	ds_write2_b64 v227, v[24:25], v[4:5] offset1:68
	ds_write2_b64 v227, v[0:1], v[6:7] offset0:136 offset1:204
	v_add_u32_e32 v0, 0x800, v57
	v_pk_fma_f32 v[20:21], v[20:21], 2.0, v[26:27] op_sel_hi:[1,0,1] neg_lo:[0,0,1] neg_hi:[0,0,1]
	ds_write2_b64 v0, v[2:3], v[8:9] offset0:16 offset1:84
	v_add_u32_e32 v0, 0x800, v56
	v_pk_add_f32 v[16:17], v[12:13], v[38:39] neg_lo:[0,1] neg_hi:[0,1]
	v_pk_fma_f32 v[22:23], v[22:23], 2.0, v[18:19] op_sel_hi:[1,0,1] neg_lo:[0,0,1] neg_hi:[0,0,1]
	ds_write2_b64 v0, v[20:21], v[26:27] offset0:152 offset1:220
	v_add_u32_e32 v0, 0x1000, v60
	v_pk_fma_f32 v[12:13], v[12:13], 2.0, v[16:17] op_sel_hi:[1,0,1] neg_lo:[0,0,1] neg_hi:[0,0,1]
	ds_write2_b64 v0, v[22:23], v[18:19] offset0:32 offset1:100
	v_add_u32_e32 v0, 0x1000, v61
	;; [unrolled: 3-line block ×3, first 2 shown]
	ds_write2_b64 v0, v[14:15], v[10:11] offset0:48 offset1:116
	v_mul_u32_u24_e32 v0, 6, v44
	v_lshlrev_b32_e32 v0, 3, v0
	v_mov_b32_e32 v1, v45
	v_lshl_add_u64 v[2:3], s[8:9], 0, v[0:1]
	v_lshl_add_u64 v[54:55], v[2:3], 0, s[4:5]
	s_waitcnt lgkmcnt(0)
	s_barrier
	global_load_dwordx4 v[4:7], v0, s[8:9] offset:968
	global_load_dwordx4 v[8:11], v[54:55], off offset:16
	global_load_dwordx4 v[12:15], v0, s[8:9] offset:952
	global_load_dwordx4 v[16:19], v0, s[8:9] offset:984
	s_movk_i32 s4, 0x1000
	v_add_co_u32_e32 v56, vcc, s4, v2
	s_mov_b32 s4, 0xbee1c552
	s_nop 0
	v_addc_co_u32_e32 v57, vcc, 0, v3, vcc
	ds_read2_b64 v[0:3], v227 offset0:68 offset1:136
	ds_read2_b64 v[20:23], v85 offset0:76 offset1:144
	;; [unrolled: 1-line block ×6, first 2 shown]
	ds_read_b64 v[58:59], v225
	ds_read_b64 v[60:61], v227 offset:7072
	global_load_dwordx4 v[46:49], v[56:57], off offset:120
	global_load_dwordx4 v[50:53], v[54:55], off offset:32
	s_waitcnt lgkmcnt(7)
	v_mov_b32_e32 v54, v3
	s_waitcnt lgkmcnt(6)
	v_mov_b32_e32 v56, v23
	s_waitcnt lgkmcnt(3)
	v_mov_b32_e32 v62, v35
	s_waitcnt lgkmcnt(0)
	s_barrier
	v_cmp_ne_u32_e32 vcc, 0, v44
	s_waitcnt vmcnt(4)
	v_pk_mul_f32 v[72:73], v[28:29], v[8:9] op_sel:[1,0] op_sel_hi:[0,1]
	s_waitcnt vmcnt(3)
	v_pk_mul_f32 v[78:79], v[12:13], v[2:3] op_sel_hi:[1,0]
	v_pk_mul_f32 v[80:81], v[14:15], v[22:23] op_sel_hi:[1,0]
	v_pk_fma_f32 v[54:55], v[12:13], v[54:55], v[78:79] op_sel:[0,0,1] op_sel_hi:[1,1,0] neg_lo:[0,0,1] neg_hi:[0,0,1]
	v_pk_fma_f32 v[2:3], v[12:13], v[2:3], v[78:79] op_sel:[0,1,1] op_sel_hi:[1,1,0]
	v_pk_fma_f32 v[12:13], v[14:15], v[56:57], v[80:81] op_sel:[0,0,1] op_sel_hi:[1,1,0] neg_lo:[0,0,1] neg_hi:[0,0,1]
	v_pk_fma_f32 v[14:15], v[14:15], v[22:23], v[80:81] op_sel:[0,1,1] op_sel_hi:[1,1,0]
	v_mov_b32_e32 v55, v3
	s_waitcnt vmcnt(2)
	v_pk_mul_f32 v[2:3], v[16:17], v[34:35] op_sel_hi:[1,0]
	v_mov_b32_e32 v13, v15
	v_pk_fma_f32 v[14:15], v[16:17], v[62:63], v[2:3] op_sel:[0,0,1] op_sel_hi:[1,1,0] neg_lo:[0,0,1] neg_hi:[0,0,1]
	v_pk_fma_f32 v[2:3], v[16:17], v[34:35], v[2:3] op_sel:[0,1,1] op_sel_hi:[1,1,0]
	v_pk_mul_f32 v[16:17], v[38:39], v[18:19] op_sel_hi:[0,1]
	v_mov_b32_e32 v2, v39
	v_mul_f32_e32 v66, v5, v27
	v_mul_f32_e32 v5, v5, v26
	v_pk_mul_f32 v[76:77], v[32:33], v[10:11] op_sel:[1,0] op_sel_hi:[0,1]
	v_mov_b32_e32 v15, v3
	v_pk_fma_f32 v[2:3], v[2:3], v[18:19], v[16:17] op_sel:[0,0,1] op_sel_hi:[1,1,0] neg_lo:[0,0,1] neg_hi:[0,0,1]
	v_pk_fma_f32 v[16:17], v[38:39], v[18:19], v[16:17] op_sel:[1,0,1] op_sel_hi:[1,1,0]
	v_mul_f32_e32 v64, v4, v26
	v_mul_f32_e32 v26, v6, v30
	;; [unrolled: 1-line block ×4, first 2 shown]
	v_mov_b32_e32 v30, v9
	v_fma_f32 v4, v4, v27, -v5
	v_mov_b32_e32 v76, v73
	v_mov_b32_e32 v3, v17
	;; [unrolled: 1-line block ×6, first 2 shown]
	v_pk_mul_f32 v[70:71], v[28:29], v[8:9]
	v_fma_f32 v6, v6, v31, -v7
	v_pk_mul_f32 v[30:31], v[28:29], v[30:31] op_sel:[1,0] op_sel_hi:[0,1]
	v_pk_fma_f32 v[8:9], v[28:29], v[8:9], v[76:77] op_sel:[1,0,0] op_sel_hi:[0,1,1] neg_lo:[0,0,1] neg_hi:[0,0,1]
	v_pk_add_f32 v[16:17], v[54:55], v[2:3]
	v_pk_add_f32 v[18:19], v[54:55], v[2:3] neg_lo:[0,1] neg_hi:[0,1]
	v_pk_add_f32 v[22:23], v[12:13], v[14:15]
	v_pk_add_f32 v[28:29], v[12:13], v[14:15] neg_lo:[0,1] neg_hi:[0,1]
	v_pk_add_f32 v[2:3], v[26:27], v[68:69]
	v_pk_add_f32 v[12:13], v[64:65], v[66:67]
	v_mov_b32_e32 v7, v2
	v_mov_b32_e32 v5, v12
	v_pk_add_f32 v[14:15], v[6:7], v[4:5] neg_lo:[0,1] neg_hi:[0,1]
	v_mov_b32_e32 v38, v23
	v_mov_b32_e32 v39, v4
	;; [unrolled: 1-line block ×6, first 2 shown]
	v_pk_add_f32 v[4:5], v[38:39], v[4:5]
	v_pk_add_f32 v[6:7], v[12:13], v[2:3]
	v_pk_mul_f32 v[74:75], v[32:33], v[10:11]
	v_pk_mul_f32 v[72:73], v[32:33], v[72:73] op_sel:[1,0] op_sel_hi:[0,1]
	v_pk_fma_f32 v[10:11], v[32:33], v[10:11], v[82:83] op_sel:[1,0,0] op_sel_hi:[0,1,1] neg_lo:[0,0,1] neg_hi:[0,0,1]
	v_mov_b32_e32 v26, v14
	v_mov_b32_e32 v27, v19
	v_mov_b32_e32 v32, v28
	v_mov_b32_e32 v33, v15
	v_mov_b32_e32 v2, v6
	v_mov_b32_e32 v39, v5
	v_pk_add_f32 v[26:27], v[26:27], v[32:33] neg_lo:[0,1] neg_hi:[0,1]
	v_mov_b32_e32 v32, v18
	v_mov_b32_e32 v34, v14
	;; [unrolled: 1-line block ×3, first 2 shown]
	v_pk_add_f32 v[38:39], v[2:3], v[38:39] neg_lo:[0,1] neg_hi:[0,1]
	v_mov_b32_e32 v54, v17
	v_mov_b32_e32 v55, v5
	;; [unrolled: 1-line block ×3, first 2 shown]
	v_pk_add_f32 v[4:5], v[4:5], v[6:7]
	v_pk_mul_f32 v[26:27], v[26:27], s[18:19]
	v_pk_add_f32 v[32:33], v[32:33], v[34:35] neg_lo:[0,1] neg_hi:[0,1]
	v_pk_add_f32 v[14:15], v[14:15], v[28:29]
	v_pk_add_f32 v[54:55], v[54:55], v[12:13] neg_lo:[0,1] neg_hi:[0,1]
	v_pk_add_f32 v[6:7], v[4:5], v[58:59]
	v_pk_mul_f32 v[38:39], v[38:39], s[14:15]
	v_pk_mul_f32 v[34:35], v[32:33], s[10:11]
	v_pk_add_f32 v[14:15], v[14:15], v[18:19]
	v_pk_mul_f32 v[56:57], v[54:55], s[16:17]
	v_pk_fma_f32 v[4:5], v[4:5], s[12:13], v[6:7] op_sel_hi:[1,0,1] neg_lo:[1,0,0] neg_hi:[1,0,0]
	v_pk_fma_f32 v[54:55], v[54:55], s[16:17], v[38:39]
	v_pk_fma_f32 v[32:33], v[32:33], s[10:11], v[26:27]
	v_pk_add_f32 v[54:55], v[54:55], v[4:5]
	v_pk_fma_f32 v[32:33], v[14:15], s[4:5], v[32:33] op_sel_hi:[1,0,1]
	v_mov_b32_e32 v2, v21
	v_pk_add_f32 v[58:59], v[54:55], v[32:33]
	v_pk_add_f32 v[32:33], v[54:55], v[32:33] neg_lo:[0,1] neg_hi:[0,1]
	s_waitcnt vmcnt(1)
	v_pk_mul_f32 v[54:55], v[20:21], v[46:47] op_sel_hi:[0,1]
	v_pk_fma_f32 v[62:63], v[2:3], v[46:47], v[54:55] op_sel:[0,0,1] op_sel_hi:[1,1,0] neg_lo:[0,0,1] neg_hi:[0,0,1]
	v_pk_fma_f32 v[20:21], v[20:21], v[46:47], v[54:55] op_sel:[1,0,1] op_sel_hi:[1,1,0]
	v_mov_b32_e32 v2, v25
	v_mov_b32_e32 v63, v21
	v_pk_mul_f32 v[20:21], v[24:25], v[48:49] op_sel_hi:[0,1]
	v_pk_fma_f32 v[46:47], v[2:3], v[48:49], v[20:21] op_sel:[0,0,1] op_sel_hi:[1,1,0] neg_lo:[0,0,1] neg_hi:[0,0,1]
	v_pk_fma_f32 v[20:21], v[24:25], v[48:49], v[20:21] op_sel:[1,0,1] op_sel_hi:[1,1,0]
	v_mov_b32_e32 v2, v37
	v_mov_b32_e32 v47, v21
	s_waitcnt vmcnt(0)
	v_pk_mul_f32 v[20:21], v[36:37], v[50:51] op_sel_hi:[0,1]
	v_pk_fma_f32 v[24:25], v[2:3], v[50:51], v[20:21] op_sel:[0,0,1] op_sel_hi:[1,1,0] neg_lo:[0,0,1] neg_hi:[0,0,1]
	v_pk_fma_f32 v[20:21], v[36:37], v[50:51], v[20:21] op_sel:[1,0,1] op_sel_hi:[1,1,0]
	v_mov_b32_e32 v2, v61
	v_mov_b32_e32 v25, v21
	v_pk_mul_f32 v[20:21], v[60:61], v[52:53] op_sel_hi:[0,1]
	v_pk_fma_f32 v[36:37], v[2:3], v[52:53], v[20:21] op_sel:[0,0,1] op_sel_hi:[1,1,0] neg_lo:[0,0,1] neg_hi:[0,0,1]
	v_pk_fma_f32 v[20:21], v[60:61], v[52:53], v[20:21] op_sel:[1,0,1] op_sel_hi:[1,1,0]
	v_mov_b32_e32 v75, v62
	v_mov_b32_e32 v37, v21
	;; [unrolled: 1-line block ×5, first 2 shown]
	v_pk_add_f32 v[20:21], v[62:63], v[36:37]
	v_pk_add_f32 v[48:49], v[62:63], v[36:37] neg_lo:[0,1] neg_hi:[0,1]
	v_pk_add_f32 v[50:51], v[46:47], v[24:25]
	v_pk_add_f32 v[52:53], v[46:47], v[24:25] neg_lo:[0,1] neg_hi:[0,1]
	v_pk_add_f32 v[36:37], v[74:75], v[72:73]
	v_pk_add_f32 v[24:25], v[70:71], v[30:31]
	v_mov_b32_e32 v11, v36
	v_mov_b32_e32 v9, v24
	v_pk_add_f32 v[30:31], v[10:11], v[8:9] neg_lo:[0,1] neg_hi:[0,1]
	v_mov_b32_e32 v47, v49
	v_mov_b32_e32 v46, v30
	;; [unrolled: 1-line block ×4, first 2 shown]
	v_pk_add_f32 v[46:47], v[46:47], v[54:55] neg_lo:[0,1] neg_hi:[0,1]
	v_mov_b32_e32 v12, v23
	v_mov_b32_e32 v2, v17
	v_pk_mul_f32 v[46:47], v[46:47], s[18:19]
	v_pk_add_f32 v[18:19], v[28:29], v[18:19] neg_lo:[0,1] neg_hi:[0,1]
	s_mov_b32 s18, 0xbf5ff5aa
	v_pk_add_f32 v[2:3], v[12:13], v[2:3] neg_lo:[0,1] neg_hi:[0,1]
	v_mov_b32_e32 v12, v56
	v_mov_b32_e32 v13, v39
	;; [unrolled: 1-line block ×4, first 2 shown]
	v_pk_fma_f32 v[12:13], v[2:3], s[20:21], v[12:13] op_sel_hi:[1,0,1] neg_lo:[1,0,1] neg_hi:[1,0,1]
	v_pk_fma_f32 v[16:17], v[18:19], s[18:19], v[16:17] op_sel_hi:[1,0,1] neg_lo:[1,0,1] neg_hi:[1,0,1]
	v_pk_add_f32 v[12:13], v[12:13], v[4:5]
	v_pk_fma_f32 v[16:17], v[14:15], s[4:5], v[16:17] op_sel_hi:[1,0,1]
	v_mov_b32_e32 v62, v58
	v_pk_add_f32 v[22:23], v[12:13], v[16:17]
	v_pk_add_f32 v[12:13], v[12:13], v[16:17] neg_lo:[0,1] neg_hi:[0,1]
	v_mov_b32_e32 v63, v33
	v_mov_b32_e32 v16, v22
	;; [unrolled: 1-line block ×5, first 2 shown]
	ds_write2_b64 v85, v[62:63], v[16:17] offset0:8 offset1:144
	v_pk_fma_f32 v[2:3], v[2:3], s[20:21], v[38:39] op_sel_hi:[1,0,1] neg_lo:[0,0,1] neg_hi:[0,0,1]
	v_pk_fma_f32 v[16:17], v[18:19], s[18:19], v[26:27] op_sel_hi:[1,0,1] neg_lo:[0,0,1] neg_hi:[0,0,1]
	v_pk_add_f32 v[2:3], v[2:3], v[4:5]
	v_pk_fma_f32 v[4:5], v[14:15], s[4:5], v[16:17] op_sel_hi:[1,0,1]
	v_mov_b32_e32 v54, v48
	v_pk_add_f32 v[14:15], v[2:3], v[4:5] neg_lo:[0,1] neg_hi:[0,1]
	v_pk_add_f32 v[2:3], v[2:3], v[4:5]
	v_mov_b32_e32 v4, v14
	v_mov_b32_e32 v5, v3
	;; [unrolled: 1-line block ×3, first 2 shown]
	ds_write2_b64 v83, v[4:5], v[2:3] offset0:24 offset1:160
	v_mov_b32_e32 v2, v51
	v_mov_b32_e32 v3, v8
	;; [unrolled: 1-line block ×4, first 2 shown]
	v_pk_add_f32 v[2:3], v[2:3], v[4:5]
	v_pk_add_f32 v[4:5], v[24:25], v[36:37]
	v_mov_b32_e32 v8, v51
	v_mov_b32_e32 v36, v4
	;; [unrolled: 1-line block ×5, first 2 shown]
	v_pk_add_f32 v[8:9], v[36:37], v[8:9] neg_lo:[0,1] neg_hi:[0,1]
	v_mov_b32_e32 v10, v21
	v_mov_b32_e32 v11, v3
	;; [unrolled: 1-line block ×3, first 2 shown]
	v_pk_add_f32 v[2:3], v[2:3], v[4:5]
	v_pk_add_f32 v[54:55], v[54:55], v[60:61] neg_lo:[0,1] neg_hi:[0,1]
	v_pk_add_f32 v[30:31], v[30:31], v[52:53]
	v_mov_b32_e32 v13, v23
	v_mov_b32_e32 v33, v59
	v_pk_add_f32 v[10:11], v[10:11], v[24:25] neg_lo:[0,1] neg_hi:[0,1]
	v_pk_add_f32 v[0:1], v[2:3], v[0:1]
	v_pk_mul_f32 v[4:5], v[8:9], s[14:15]
	v_pk_add_f32 v[30:31], v[30:31], v[48:49]
	ds_write2_b64 v84, v[12:13], v[32:33] offset0:40 offset1:176
	v_pk_mul_f32 v[8:9], v[10:11], s[16:17]
	v_pk_fma_f32 v[2:3], v[2:3], s[12:13], v[0:1] op_sel_hi:[1,0,1] neg_lo:[1,0,0] neg_hi:[1,0,0]
	v_pk_fma_f32 v[10:11], v[10:11], s[16:17], v[4:5]
	v_pk_fma_f32 v[12:13], v[54:55], s[10:11], v[46:47]
	v_pk_mul_f32 v[60:61], v[54:55], s[10:11]
	v_pk_add_f32 v[10:11], v[10:11], v[2:3]
	v_pk_fma_f32 v[12:13], v[30:31], s[4:5], v[12:13] op_sel_hi:[1,0,1]
	v_mov_b32_e32 v24, v51
	v_mov_b32_e32 v36, v21
	v_pk_add_f32 v[14:15], v[10:11], v[12:13]
	v_pk_add_f32 v[10:11], v[10:11], v[12:13] neg_lo:[0,1] neg_hi:[0,1]
	ds_write2_b64 v227, v[6:7], v[0:1] offset1:68
	v_pk_add_f32 v[6:7], v[52:53], v[48:49] neg_lo:[0,1] neg_hi:[0,1]
	v_pk_add_f32 v[12:13], v[24:25], v[36:37] neg_lo:[0,1] neg_hi:[0,1]
	v_mov_b32_e32 v16, v8
	v_mov_b32_e32 v17, v5
	;; [unrolled: 1-line block ×4, first 2 shown]
	v_pk_fma_f32 v[16:17], v[12:13], s[20:21], v[16:17] op_sel_hi:[1,0,1] neg_lo:[1,0,1] neg_hi:[1,0,1]
	v_pk_fma_f32 v[18:19], v[6:7], s[18:19], v[18:19] op_sel_hi:[1,0,1] neg_lo:[1,0,1] neg_hi:[1,0,1]
	v_pk_add_f32 v[16:17], v[16:17], v[2:3]
	v_pk_fma_f32 v[18:19], v[30:31], s[4:5], v[18:19] op_sel_hi:[1,0,1]
	v_mov_b32_e32 v0, v14
	v_pk_add_f32 v[20:21], v[16:17], v[18:19]
	v_pk_add_f32 v[16:17], v[16:17], v[18:19] neg_lo:[0,1] neg_hi:[0,1]
	v_mov_b32_e32 v1, v11
	v_mov_b32_e32 v18, v20
	v_mov_b32_e32 v19, v17
	v_mov_b32_e32 v5, v9
	v_mov_b32_e32 v47, v61
	ds_write2_b64 v85, v[0:1], v[18:19] offset0:76 offset1:212
	v_pk_fma_f32 v[0:1], v[12:13], s[20:21], v[4:5] op_sel_hi:[1,0,1] neg_lo:[0,0,1] neg_hi:[0,0,1]
	v_pk_fma_f32 v[4:5], v[6:7], s[18:19], v[46:47] op_sel_hi:[1,0,1] neg_lo:[0,0,1] neg_hi:[0,0,1]
	v_pk_add_f32 v[0:1], v[0:1], v[2:3]
	v_pk_fma_f32 v[2:3], v[30:31], s[4:5], v[4:5] op_sel_hi:[1,0,1]
	v_mov_b32_e32 v17, v21
	v_pk_add_f32 v[4:5], v[0:1], v[2:3] neg_lo:[0,1] neg_hi:[0,1]
	v_pk_add_f32 v[0:1], v[0:1], v[2:3]
	v_mov_b32_e32 v2, v4
	v_mov_b32_e32 v3, v1
	;; [unrolled: 1-line block ×4, first 2 shown]
	ds_write2_b64 v83, v[2:3], v[0:1] offset0:92 offset1:228
	ds_write2_b64 v84, v[16:17], v[10:11] offset0:108 offset1:244
	s_waitcnt lgkmcnt(0)
	s_barrier
	ds_read_b64 v[6:7], v225
	s_add_u32 s4, s8, 0x1d38
	s_addc_u32 s5, s9, 0
	v_sub_u32_e32 v8, v88, v226
	v_lshl_add_u64 v[0:1], v[44:45], 3, s[4:5]
                                        ; implicit-def: $vgpr3
                                        ; implicit-def: $vgpr4_vgpr5
	s_and_saveexec_b64 s[4:5], vcc
	s_xor_b64 s[4:5], exec, s[4:5]
	s_cbranch_execz .LBB0_20
; %bb.19:
	global_load_dwordx2 v[4:5], v[0:1], off
	ds_read_b64 v[2:3], v8 offset:7616
	v_mov_b32_e32 v11, 0.5
	v_mov_b32_e32 v12, v11
	s_waitcnt lgkmcnt(0)
	v_pk_add_f32 v[14:15], v[2:3], v[6:7]
	v_pk_add_f32 v[2:3], v[6:7], v[2:3] neg_lo:[0,1] neg_hi:[0,1]
	v_mov_b32_e32 v6, v15
	v_mov_b32_e32 v7, v2
	v_pk_mul_f32 v[6:7], v[6:7], 0.5 op_sel_hi:[1,0]
	s_waitcnt vmcnt(0)
	v_mov_b32_e32 v10, v5
	v_mov_b32_e32 v2, v7
	;; [unrolled: 1-line block ×4, first 2 shown]
	v_pk_mul_f32 v[2:3], v[10:11], v[2:3]
	v_pk_mul_f32 v[16:17], v[4:5], v[6:7] op_sel_hi:[0,1]
	v_pk_fma_f32 v[10:11], v[14:15], v[12:13], v[2:3]
	v_pk_fma_f32 v[12:13], v[14:15], v[12:13], v[2:3] neg_lo:[0,0,1] neg_hi:[0,0,1]
	v_pk_fma_f32 v[2:3], v[4:5], v[6:7], v[10:11] op_sel_hi:[0,1,1] neg_lo:[1,0,0] neg_hi:[1,0,0]
	v_pk_fma_f32 v[4:5], v[4:5], v[6:7], v[12:13] op_sel_hi:[0,1,1] neg_lo:[1,0,0] neg_hi:[1,0,0]
	v_add_f32_e32 v2, v10, v16
                                        ; implicit-def: $vgpr6_vgpr7
.LBB0_20:
	s_andn2_saveexec_b64 s[4:5], s[4:5]
	s_cbranch_execz .LBB0_22
; %bb.21:
	ds_read_b32 v3, v88 offset:3812
	s_waitcnt lgkmcnt(1)
	v_mov_b32_e32 v4, v7
	v_pk_add_f32 v[4:5], v[6:7], v[4:5] neg_lo:[0,1] neg_hi:[0,1]
	v_add_f32_e32 v2, v7, v6
	v_mov_b32_e32 v5, 0
	s_waitcnt lgkmcnt(0)
	v_xor_b32_e32 v3, 0x80000000, v3
	ds_write_b32 v88, v3 offset:3812
	v_mov_b32_e32 v3, v5
.LBB0_22:
	s_or_b64 exec, exec, s[4:5]
	s_waitcnt lgkmcnt(0)
	global_load_dwordx2 v[6:7], v[0:1], off offset:544
	global_load_dwordx2 v[10:11], v[0:1], off offset:1088
	;; [unrolled: 1-line block ×4, first 2 shown]
	ds_write_b64 v225, v[2:3]
	ds_write_b64 v8, v[4:5] offset:7616
	ds_read_b64 v[2:3], v225 offset:544
	ds_read_b64 v[4:5], v8 offset:7072
	global_load_dwordx2 v[18:19], v[0:1], off offset:2720
	v_mov_b32_e32 v17, 0.5
	v_mov_b32_e32 v20, v17
	s_waitcnt lgkmcnt(0)
	v_pk_add_f32 v[22:23], v[2:3], v[4:5]
	v_pk_add_f32 v[2:3], v[2:3], v[4:5] neg_lo:[0,1] neg_hi:[0,1]
	v_mov_b32_e32 v4, v23
	v_mov_b32_e32 v5, v2
	v_pk_mul_f32 v[4:5], v[4:5], 0.5 op_sel_hi:[1,0]
	s_waitcnt vmcnt(4)
	v_mov_b32_e32 v21, v7
	v_mov_b32_e32 v23, v4
	;; [unrolled: 1-line block ×4, first 2 shown]
	v_pk_mul_f32 v[20:21], v[22:23], v[20:21]
	s_nop 0
	v_pk_fma_f32 v[22:23], v[16:17], v[2:3], v[20:21] neg_lo:[1,0,0] neg_hi:[1,0,0]
	v_pk_fma_f32 v[2:3], v[16:17], v[2:3], v[20:21]
	v_pk_fma_f32 v[20:21], v[6:7], v[4:5], v[22:23] op_sel_hi:[0,1,1] neg_lo:[1,0,0] neg_hi:[1,0,0]
	v_pk_fma_f32 v[22:23], v[6:7], v[4:5], v[2:3] op_sel_hi:[0,1,1]
	v_pk_fma_f32 v[2:3], v[6:7], v[4:5], v[2:3] op_sel_hi:[0,1,1] neg_lo:[1,0,0] neg_hi:[1,0,0]
	v_mov_b32_e32 v23, v3
	ds_write_b64 v225, v[22:23] offset:544
	ds_write_b64 v8, v[20:21] offset:7072
	ds_read_b64 v[2:3], v225 offset:1088
	ds_read_b64 v[4:5], v8 offset:6528
	global_load_dwordx2 v[0:1], v[0:1], off offset:3264
	v_mov_b32_e32 v6, v17
	s_waitcnt vmcnt(4)
	v_mov_b32_e32 v7, v11
	v_mov_b32_e32 v16, v11
	s_waitcnt lgkmcnt(0)
	v_pk_add_f32 v[20:21], v[2:3], v[4:5]
	v_pk_add_f32 v[2:3], v[2:3], v[4:5] neg_lo:[0,1] neg_hi:[0,1]
	v_mov_b32_e32 v4, v21
	v_mov_b32_e32 v5, v2
	v_pk_mul_f32 v[4:5], v[4:5], 0.5 op_sel_hi:[1,0]
	s_nop 0
	v_mov_b32_e32 v21, v4
	v_mov_b32_e32 v2, v5
	v_pk_mul_f32 v[6:7], v[20:21], v[6:7]
	s_nop 0
	v_pk_fma_f32 v[20:21], v[16:17], v[2:3], v[6:7] neg_lo:[1,0,0] neg_hi:[1,0,0]
	v_pk_fma_f32 v[2:3], v[16:17], v[2:3], v[6:7]
	v_pk_fma_f32 v[6:7], v[10:11], v[4:5], v[20:21] op_sel_hi:[0,1,1] neg_lo:[1,0,0] neg_hi:[1,0,0]
	v_pk_fma_f32 v[20:21], v[10:11], v[4:5], v[2:3] op_sel_hi:[0,1,1]
	v_pk_fma_f32 v[2:3], v[10:11], v[4:5], v[2:3] op_sel_hi:[0,1,1] neg_lo:[1,0,0] neg_hi:[1,0,0]
	v_mov_b32_e32 v21, v3
	ds_write_b64 v225, v[20:21] offset:1088
	ds_write_b64 v8, v[6:7] offset:6528
	ds_read_b64 v[2:3], v225 offset:1632
	ds_read_b64 v[4:5], v8 offset:5984
	v_mov_b32_e32 v6, v17
	s_waitcnt vmcnt(3)
	v_mov_b32_e32 v7, v13
	v_mov_b32_e32 v16, v13
	s_waitcnt lgkmcnt(0)
	v_pk_add_f32 v[10:11], v[2:3], v[4:5]
	v_pk_add_f32 v[2:3], v[2:3], v[4:5] neg_lo:[0,1] neg_hi:[0,1]
	v_mov_b32_e32 v4, v11
	v_mov_b32_e32 v5, v2
	v_pk_mul_f32 v[4:5], v[4:5], 0.5 op_sel_hi:[1,0]
	s_nop 0
	v_mov_b32_e32 v11, v4
	v_mov_b32_e32 v2, v5
	v_pk_mul_f32 v[6:7], v[10:11], v[6:7]
	s_nop 0
	v_pk_fma_f32 v[10:11], v[16:17], v[2:3], v[6:7] neg_lo:[1,0,0] neg_hi:[1,0,0]
	v_pk_fma_f32 v[2:3], v[16:17], v[2:3], v[6:7]
	v_pk_fma_f32 v[6:7], v[12:13], v[4:5], v[10:11] op_sel_hi:[0,1,1] neg_lo:[1,0,0] neg_hi:[1,0,0]
	v_pk_fma_f32 v[10:11], v[12:13], v[4:5], v[2:3] op_sel_hi:[0,1,1]
	v_pk_fma_f32 v[2:3], v[12:13], v[4:5], v[2:3] op_sel_hi:[0,1,1] neg_lo:[1,0,0] neg_hi:[1,0,0]
	v_mov_b32_e32 v11, v3
	ds_write_b64 v225, v[10:11] offset:1632
	ds_write_b64 v8, v[6:7] offset:5984
	ds_read_b64 v[2:3], v225 offset:2176
	ds_read_b64 v[4:5], v8 offset:5440
	;; [unrolled: 25-line block ×4, first 2 shown]
	v_mov_b32_e32 v6, v17
	s_waitcnt vmcnt(0)
	v_mov_b32_e32 v7, v1
	v_mov_b32_e32 v16, v1
	s_waitcnt lgkmcnt(0)
	v_pk_add_f32 v[10:11], v[2:3], v[4:5]
	v_pk_add_f32 v[2:3], v[2:3], v[4:5] neg_lo:[0,1] neg_hi:[0,1]
	v_mov_b32_e32 v4, v11
	v_mov_b32_e32 v5, v2
	v_pk_mul_f32 v[4:5], v[4:5], 0.5 op_sel_hi:[1,0]
	s_nop 0
	v_mov_b32_e32 v11, v4
	v_mov_b32_e32 v2, v5
	v_pk_mul_f32 v[6:7], v[10:11], v[6:7]
	s_nop 0
	v_pk_fma_f32 v[10:11], v[16:17], v[2:3], v[6:7] neg_lo:[1,0,0] neg_hi:[1,0,0]
	v_pk_fma_f32 v[2:3], v[16:17], v[2:3], v[6:7]
	v_pk_fma_f32 v[6:7], v[0:1], v[4:5], v[10:11] op_sel_hi:[0,1,1] neg_lo:[1,0,0] neg_hi:[1,0,0]
	v_pk_fma_f32 v[10:11], v[0:1], v[4:5], v[2:3] op_sel_hi:[0,1,1]
	v_pk_fma_f32 v[0:1], v[0:1], v[4:5], v[2:3] op_sel_hi:[0,1,1] neg_lo:[1,0,0] neg_hi:[1,0,0]
	v_mov_b32_e32 v11, v1
	ds_write_b64 v225, v[10:11] offset:3264
	ds_write_b64 v8, v[6:7] offset:4352
	s_waitcnt lgkmcnt(0)
	s_barrier
	s_and_saveexec_b64 s[4:5], s[0:1]
	s_cbranch_execz .LBB0_25
; %bb.23:
	v_mul_lo_u32 v2, s3, v42
	v_mul_lo_u32 v3, s2, v43
	v_mad_u64_u32 v[0:1], s[0:1], s2, v42, 0
	v_add3_u32 v1, v1, v3, v2
	v_lshl_add_u32 v2, v44, 3, v88
	ds_read2_b64 v[4:7], v2 offset1:68
	v_lshl_add_u64 v[0:1], v[0:1], 3, s[6:7]
	v_mov_b32_e32 v45, 0
	v_lshl_add_u64 v[0:1], v[40:41], 3, v[0:1]
	v_lshl_add_u64 v[8:9], v[44:45], 3, v[0:1]
	s_waitcnt lgkmcnt(0)
	global_store_dwordx2 v[8:9], v[4:5], off
	ds_read2_b64 v[8:11], v2 offset0:136 offset1:204
	v_add_u32_e32 v4, 0x44, v44
	v_mov_b32_e32 v5, v45
	v_lshl_add_u64 v[4:5], v[4:5], 3, v[0:1]
	global_store_dwordx2 v[4:5], v[6:7], off
	v_add_u32_e32 v4, 0x88, v44
	v_mov_b32_e32 v5, v45
	v_lshl_add_u64 v[4:5], v[4:5], 3, v[0:1]
	s_waitcnt lgkmcnt(0)
	global_store_dwordx2 v[4:5], v[8:9], off
	v_add_u32_e32 v4, 0xcc, v44
	v_mov_b32_e32 v5, v45
	v_add_u32_e32 v3, 0x800, v2
	v_lshl_add_u64 v[8:9], v[4:5], 3, v[0:1]
	ds_read2_b64 v[4:7], v3 offset0:16 offset1:84
	global_store_dwordx2 v[8:9], v[10:11], off
	v_add_u32_e32 v8, 0x110, v44
	v_mov_b32_e32 v9, v45
	v_lshl_add_u64 v[8:9], v[8:9], 3, v[0:1]
	s_waitcnt lgkmcnt(0)
	global_store_dwordx2 v[8:9], v[4:5], off
	ds_read2_b64 v[8:11], v3 offset0:152 offset1:220
	v_add_u32_e32 v4, 0x154, v44
	v_mov_b32_e32 v5, v45
	v_lshl_add_u64 v[4:5], v[4:5], 3, v[0:1]
	global_store_dwordx2 v[4:5], v[6:7], off
	v_add_u32_e32 v4, 0x198, v44
	v_mov_b32_e32 v5, v45
	v_lshl_add_u64 v[4:5], v[4:5], 3, v[0:1]
	s_waitcnt lgkmcnt(0)
	global_store_dwordx2 v[4:5], v[8:9], off
	v_add_u32_e32 v4, 0x1dc, v44
	v_mov_b32_e32 v5, v45
	v_add_u32_e32 v3, 0x1000, v2
	v_lshl_add_u64 v[8:9], v[4:5], 3, v[0:1]
	ds_read2_b64 v[4:7], v3 offset0:32 offset1:100
	global_store_dwordx2 v[8:9], v[10:11], off
	v_add_u32_e32 v8, 0x220, v44
	v_mov_b32_e32 v9, v45
	;; [unrolled: 21-line block ×3, first 2 shown]
	v_lshl_add_u64 v[8:9], v[8:9], 3, v[0:1]
	s_waitcnt lgkmcnt(0)
	global_store_dwordx2 v[8:9], v[4:5], off
	v_add_u32_e32 v4, 0x374, v44
	v_mov_b32_e32 v5, v45
	s_movk_i32 s0, 0x43
	v_lshl_add_u64 v[4:5], v[4:5], 3, v[0:1]
	v_cmp_eq_u32_e32 vcc, s0, v44
	global_store_dwordx2 v[4:5], v[6:7], off
	s_and_b64 exec, exec, vcc
	s_cbranch_execz .LBB0_25
; %bb.24:
	ds_read_b64 v[2:3], v2 offset:7080
	v_add_co_u32_e32 v0, vcc, 0x1000, v0
	s_nop 1
	v_addc_co_u32_e32 v1, vcc, 0, v1, vcc
	s_waitcnt lgkmcnt(0)
	global_store_dwordx2 v[0:1], v[2:3], off offset:3520
.LBB0_25:
	s_endpgm
	.section	.rodata,"a",@progbits
	.p2align	6, 0x0
	.amdhsa_kernel fft_rtc_back_len952_factors_17_4_2_7_wgs_204_tpt_68_halfLds_sp_op_CI_CI_unitstride_sbrr_R2C_dirReg
		.amdhsa_group_segment_fixed_size 0
		.amdhsa_private_segment_fixed_size 0
		.amdhsa_kernarg_size 104
		.amdhsa_user_sgpr_count 2
		.amdhsa_user_sgpr_dispatch_ptr 0
		.amdhsa_user_sgpr_queue_ptr 0
		.amdhsa_user_sgpr_kernarg_segment_ptr 1
		.amdhsa_user_sgpr_dispatch_id 0
		.amdhsa_user_sgpr_kernarg_preload_length 0
		.amdhsa_user_sgpr_kernarg_preload_offset 0
		.amdhsa_user_sgpr_private_segment_size 0
		.amdhsa_uses_dynamic_stack 0
		.amdhsa_enable_private_segment 0
		.amdhsa_system_sgpr_workgroup_id_x 1
		.amdhsa_system_sgpr_workgroup_id_y 0
		.amdhsa_system_sgpr_workgroup_id_z 0
		.amdhsa_system_sgpr_workgroup_info 0
		.amdhsa_system_vgpr_workitem_id 0
		.amdhsa_next_free_vgpr 266
		.amdhsa_next_free_sgpr 56
		.amdhsa_accum_offset 256
		.amdhsa_reserve_vcc 1
		.amdhsa_float_round_mode_32 0
		.amdhsa_float_round_mode_16_64 0
		.amdhsa_float_denorm_mode_32 3
		.amdhsa_float_denorm_mode_16_64 3
		.amdhsa_dx10_clamp 1
		.amdhsa_ieee_mode 1
		.amdhsa_fp16_overflow 0
		.amdhsa_tg_split 0
		.amdhsa_exception_fp_ieee_invalid_op 0
		.amdhsa_exception_fp_denorm_src 0
		.amdhsa_exception_fp_ieee_div_zero 0
		.amdhsa_exception_fp_ieee_overflow 0
		.amdhsa_exception_fp_ieee_underflow 0
		.amdhsa_exception_fp_ieee_inexact 0
		.amdhsa_exception_int_div_zero 0
	.end_amdhsa_kernel
	.text
.Lfunc_end0:
	.size	fft_rtc_back_len952_factors_17_4_2_7_wgs_204_tpt_68_halfLds_sp_op_CI_CI_unitstride_sbrr_R2C_dirReg, .Lfunc_end0-fft_rtc_back_len952_factors_17_4_2_7_wgs_204_tpt_68_halfLds_sp_op_CI_CI_unitstride_sbrr_R2C_dirReg
                                        ; -- End function
	.section	.AMDGPU.csdata,"",@progbits
; Kernel info:
; codeLenInByte = 12096
; NumSgprs: 62
; NumVgprs: 256
; NumAgprs: 10
; TotalNumVgprs: 266
; ScratchSize: 0
; MemoryBound: 0
; FloatMode: 240
; IeeeMode: 1
; LDSByteSize: 0 bytes/workgroup (compile time only)
; SGPRBlocks: 7
; VGPRBlocks: 33
; NumSGPRsForWavesPerEU: 62
; NumVGPRsForWavesPerEU: 266
; AccumOffset: 256
; Occupancy: 1
; WaveLimiterHint : 1
; COMPUTE_PGM_RSRC2:SCRATCH_EN: 0
; COMPUTE_PGM_RSRC2:USER_SGPR: 2
; COMPUTE_PGM_RSRC2:TRAP_HANDLER: 0
; COMPUTE_PGM_RSRC2:TGID_X_EN: 1
; COMPUTE_PGM_RSRC2:TGID_Y_EN: 0
; COMPUTE_PGM_RSRC2:TGID_Z_EN: 0
; COMPUTE_PGM_RSRC2:TIDIG_COMP_CNT: 0
; COMPUTE_PGM_RSRC3_GFX90A:ACCUM_OFFSET: 63
; COMPUTE_PGM_RSRC3_GFX90A:TG_SPLIT: 0
	.text
	.p2alignl 6, 3212836864
	.fill 256, 4, 3212836864
	.type	__hip_cuid_c922374423ebfc80,@object ; @__hip_cuid_c922374423ebfc80
	.section	.bss,"aw",@nobits
	.globl	__hip_cuid_c922374423ebfc80
__hip_cuid_c922374423ebfc80:
	.byte	0                               ; 0x0
	.size	__hip_cuid_c922374423ebfc80, 1

	.ident	"AMD clang version 19.0.0git (https://github.com/RadeonOpenCompute/llvm-project roc-6.4.0 25133 c7fe45cf4b819c5991fe208aaa96edf142730f1d)"
	.section	".note.GNU-stack","",@progbits
	.addrsig
	.addrsig_sym __hip_cuid_c922374423ebfc80
	.amdgpu_metadata
---
amdhsa.kernels:
  - .agpr_count:     10
    .args:
      - .actual_access:  read_only
        .address_space:  global
        .offset:         0
        .size:           8
        .value_kind:     global_buffer
      - .offset:         8
        .size:           8
        .value_kind:     by_value
      - .actual_access:  read_only
        .address_space:  global
        .offset:         16
        .size:           8
        .value_kind:     global_buffer
      - .actual_access:  read_only
        .address_space:  global
        .offset:         24
        .size:           8
        .value_kind:     global_buffer
      - .actual_access:  read_only
        .address_space:  global
        .offset:         32
        .size:           8
        .value_kind:     global_buffer
      - .offset:         40
        .size:           8
        .value_kind:     by_value
      - .actual_access:  read_only
        .address_space:  global
        .offset:         48
        .size:           8
        .value_kind:     global_buffer
      - .actual_access:  read_only
        .address_space:  global
        .offset:         56
        .size:           8
        .value_kind:     global_buffer
      - .offset:         64
        .size:           4
        .value_kind:     by_value
      - .actual_access:  read_only
        .address_space:  global
        .offset:         72
        .size:           8
        .value_kind:     global_buffer
      - .actual_access:  read_only
        .address_space:  global
        .offset:         80
        .size:           8
        .value_kind:     global_buffer
      - .actual_access:  read_only
        .address_space:  global
        .offset:         88
        .size:           8
        .value_kind:     global_buffer
      - .actual_access:  write_only
        .address_space:  global
        .offset:         96
        .size:           8
        .value_kind:     global_buffer
    .group_segment_fixed_size: 0
    .kernarg_segment_align: 8
    .kernarg_segment_size: 104
    .language:       OpenCL C
    .language_version:
      - 2
      - 0
    .max_flat_workgroup_size: 204
    .name:           fft_rtc_back_len952_factors_17_4_2_7_wgs_204_tpt_68_halfLds_sp_op_CI_CI_unitstride_sbrr_R2C_dirReg
    .private_segment_fixed_size: 0
    .sgpr_count:     62
    .sgpr_spill_count: 0
    .symbol:         fft_rtc_back_len952_factors_17_4_2_7_wgs_204_tpt_68_halfLds_sp_op_CI_CI_unitstride_sbrr_R2C_dirReg.kd
    .uniform_work_group_size: 1
    .uses_dynamic_stack: false
    .vgpr_count:     266
    .vgpr_spill_count: 0
    .wavefront_size: 64
amdhsa.target:   amdgcn-amd-amdhsa--gfx950
amdhsa.version:
  - 1
  - 2
...

	.end_amdgpu_metadata
